;; amdgpu-corpus repo=ROCm/rocFFT kind=compiled arch=gfx1201 opt=O3
	.text
	.amdgcn_target "amdgcn-amd-amdhsa--gfx1201"
	.amdhsa_code_object_version 6
	.protected	bluestein_single_back_len1089_dim1_sp_op_CI_CI ; -- Begin function bluestein_single_back_len1089_dim1_sp_op_CI_CI
	.globl	bluestein_single_back_len1089_dim1_sp_op_CI_CI
	.p2align	8
	.type	bluestein_single_back_len1089_dim1_sp_op_CI_CI,@function
bluestein_single_back_len1089_dim1_sp_op_CI_CI: ; @bluestein_single_back_len1089_dim1_sp_op_CI_CI
; %bb.0:
	s_load_b128 s[8:11], s[0:1], 0x28
	v_mul_u32_u24_e32 v1, 0x21e, v0
	s_mov_b32 s2, exec_lo
	v_mov_b32_e32 v73, 0
	s_delay_alu instid0(VALU_DEP_2) | instskip(NEXT) | instid1(VALU_DEP_1)
	v_lshrrev_b32_e32 v1, 16, v1
	v_add_nc_u32_e32 v72, ttmp9, v1
	s_wait_kmcnt 0x0
	s_delay_alu instid0(VALU_DEP_1)
	v_cmpx_gt_u64_e64 s[8:9], v[72:73]
	s_cbranch_execz .LBB0_18
; %bb.1:
	s_load_b128 s[4:7], s[0:1], 0x18
	v_mul_lo_u16 v1, 0x79, v1
                                        ; implicit-def: $vgpr40
	s_delay_alu instid0(VALU_DEP_1) | instskip(NEXT) | instid1(VALU_DEP_1)
	v_sub_nc_u16 v32, v0, v1
	v_and_b32_e32 v97, 0xffff, v32
	v_mul_lo_u16 v33, v32, 3
	s_delay_alu instid0(VALU_DEP_2) | instskip(SKIP_2) | instid1(VALU_DEP_1)
	v_lshlrev_b32_e32 v98, 3, v97
	s_wait_kmcnt 0x0
	s_load_b128 s[12:15], s[4:5], 0x0
	v_add_nc_u32_e32 v34, 0xc00, v98
	s_wait_kmcnt 0x0
	v_mad_co_u64_u32 v[0:1], null, s14, v72, 0
	v_mad_co_u64_u32 v[2:3], null, s12, v97, 0
	s_mul_u64 s[2:3], s[12:13], 0xb58
	s_mul_i32 s4, s13, 0xffffed18
	s_delay_alu instid0(SALU_CYCLE_1) | instskip(NEXT) | instid1(VALU_DEP_1)
	s_sub_co_i32 s4, s4, s12
	v_mad_co_u64_u32 v[4:5], null, s15, v72, v[1:2]
	s_delay_alu instid0(VALU_DEP_1) | instskip(NEXT) | instid1(VALU_DEP_3)
	v_mov_b32_e32 v1, v4
	v_mad_co_u64_u32 v[5:6], null, s13, v97, v[3:4]
	s_delay_alu instid0(VALU_DEP_2) | instskip(NEXT) | instid1(VALU_DEP_2)
	v_lshlrev_b64_e32 v[0:1], 3, v[0:1]
	v_mov_b32_e32 v3, v5
	s_delay_alu instid0(VALU_DEP_2) | instskip(NEXT) | instid1(VALU_DEP_3)
	v_add_co_u32 v0, vcc_lo, s10, v0
	v_add_co_ci_u32_e32 v1, vcc_lo, s11, v1, vcc_lo
	s_load_b128 s[8:11], s[0:1], 0x0
	s_delay_alu instid0(VALU_DEP_3) | instskip(NEXT) | instid1(VALU_DEP_1)
	v_lshlrev_b64_e32 v[2:3], 3, v[2:3]
	v_add_co_u32 v0, vcc_lo, v0, v2
	s_wait_alu 0xfffd
	s_delay_alu instid0(VALU_DEP_2) | instskip(NEXT) | instid1(VALU_DEP_2)
	v_add_co_ci_u32_e32 v1, vcc_lo, v1, v3, vcc_lo
	v_add_co_u32 v2, vcc_lo, v0, s2
	s_wait_alu 0xfffd
	s_delay_alu instid0(VALU_DEP_2)
	v_add_co_ci_u32_e32 v3, vcc_lo, s3, v1, vcc_lo
	global_load_b64 v[10:11], v[0:1], off
	v_add_co_u32 v4, vcc_lo, v2, s2
	s_wait_alu 0xfffd
	v_add_co_ci_u32_e32 v5, vcc_lo, s3, v3, vcc_lo
	s_wait_kmcnt 0x0
	s_clause 0x1
	global_load_b64 v[85:86], v98, s[8:9]
	global_load_b64 v[83:84], v98, s[8:9] offset:2904
	global_load_b64 v[2:3], v[2:3], off
	global_load_b64 v[87:88], v98, s[8:9] offset:5808
	v_mad_co_u64_u32 v[6:7], null, 0xffffed18, s12, v[4:5]
	s_delay_alu instid0(VALU_DEP_1) | instskip(NEXT) | instid1(VALU_DEP_2)
	v_add_nc_u32_e32 v7, s4, v7
	v_add_co_u32 v8, vcc_lo, v6, s2
	s_wait_loadcnt 0x3
	v_mul_f32_e32 v20, v11, v86
	s_wait_loadcnt 0x1
	v_mul_f32_e32 v22, v3, v84
	s_wait_alu 0xfffd
	v_add_co_ci_u32_e32 v9, vcc_lo, s3, v7, vcc_lo
	v_add_co_u32 v0, vcc_lo, v8, s2
	s_delay_alu instid0(VALU_DEP_3) | instskip(SKIP_1) | instid1(VALU_DEP_3)
	v_fmac_f32_e32 v22, v2, v83
	s_wait_alu 0xfffd
	v_add_co_ci_u32_e32 v1, vcc_lo, s3, v9, vcc_lo
	global_load_b64 v[4:5], v[4:5], off
	global_load_b64 v[89:90], v98, s[8:9] offset:968
	global_load_b64 v[6:7], v[6:7], off
	s_clause 0x2
	global_load_b64 v[77:78], v98, s[8:9] offset:3872
	global_load_b64 v[75:76], v98, s[8:9] offset:6776
	;; [unrolled: 1-line block ×3, first 2 shown]
	global_load_b64 v[8:9], v[8:9], off
	v_mul_f32_e32 v21, v10, v86
	v_add_nc_u32_e32 v35, 0x1400, v98
	v_mad_co_u64_u32 v[12:13], null, 0xffffed18, s12, v[0:1]
	global_load_b64 v[14:15], v[0:1], off
	v_fma_f32 v21, v11, v85, -v21
	v_mul_f32_e32 v11, v2, v84
	v_fmac_f32_e32 v20, v10, v85
	v_add_nc_u32_e32 v13, s4, v13
	v_add_co_u32 v0, vcc_lo, v12, s2
	s_delay_alu instid0(VALU_DEP_4) | instskip(SKIP_1) | instid1(VALU_DEP_3)
	v_fma_f32 v23, v3, v83, -v11
	s_wait_alu 0xfffd
	v_add_co_ci_u32_e32 v1, vcc_lo, s3, v13, vcc_lo
	s_delay_alu instid0(VALU_DEP_3)
	v_add_co_u32 v16, vcc_lo, v0, s2
	global_load_b64 v[12:13], v[12:13], off
	s_wait_alu 0xfffd
	v_add_co_ci_u32_e32 v17, vcc_lo, s3, v1, vcc_lo
	global_load_b64 v[79:80], v98, s[8:9] offset:4840
	global_load_b64 v[18:19], v[0:1], off
	global_load_b64 v[81:82], v98, s[8:9] offset:7744
	global_load_b64 v[16:17], v[16:17], off
	v_add_nc_u32_e32 v0, 0x1800, v98
	v_add_nc_u32_e32 v1, 0x400, v98
	s_load_b64 s[2:3], s[0:1], 0x38
	v_add_co_u32 v42, s0, 0x79, v97
	s_load_b128 s[4:7], s[6:7], 0x0
	v_cmp_gt_u16_e32 vcc_lo, 0x63, v32
	s_wait_loadcnt 0xc
	v_mul_f32_e32 v2, v5, v88
	s_wait_loadcnt 0xa
	v_dual_mul_f32 v24, v4, v88 :: v_dual_mul_f32 v11, v6, v90
	v_mul_f32_e32 v10, v7, v90
	s_delay_alu instid0(VALU_DEP_3)
	v_fmac_f32_e32 v2, v4, v87
	s_wait_loadcnt 0x6
	v_mul_f32_e32 v4, v9, v78
	v_fma_f32 v11, v7, v89, -v11
	v_fma_f32 v3, v5, v87, -v24
	v_mul_f32_e32 v5, v8, v78
	s_wait_loadcnt 0x5
	v_mul_f32_e32 v7, v14, v76
	v_fmac_f32_e32 v10, v6, v89
	v_mul_f32_e32 v6, v15, v76
	v_fma_f32 v5, v9, v77, -v5
	s_delay_alu instid0(VALU_DEP_4)
	v_fma_f32 v7, v15, v75, -v7
	s_wait_loadcnt 0x4
	v_mul_f32_e32 v9, v12, v74
	s_wait_loadcnt 0x2
	v_dual_mul_f32 v15, v18, v80 :: v_dual_fmac_f32 v4, v8, v77
	v_mul_f32_e32 v8, v13, v74
	v_fmac_f32_e32 v6, v14, v75
	s_wait_loadcnt 0x0
	v_mul_f32_e32 v14, v17, v82
	v_mul_f32_e32 v24, v16, v82
	v_fma_f32 v9, v13, v73, -v9
	v_fmac_f32_e32 v8, v12, v73
	v_mul_f32_e32 v12, v19, v80
	v_fma_f32 v13, v19, v79, -v15
	v_fmac_f32_e32 v14, v16, v81
	v_fma_f32 v15, v17, v81, -v24
	s_delay_alu instid0(VALU_DEP_4)
	v_fmac_f32_e32 v12, v18, v79
	ds_store_b64 v98, v[22:23] offset:2904
	ds_store_b64 v98, v[2:3] offset:5808
	ds_store_2addr_b64 v98, v[20:21], v[10:11] offset1:121
	ds_store_b64 v98, v[8:9] offset:1936
	ds_store_2addr_b64 v34, v[4:5], v[12:13] offset0:100 offset1:221
	ds_store_2addr_b64 v0, v[6:7], v[14:15] offset0:79 offset1:200
	v_add_co_ci_u32_e64 v6, null, 0, 0, s0
	global_wb scope:SCOPE_SE
	s_wait_dscnt 0x0
	s_wait_kmcnt 0x0
	s_barrier_signal -1
	s_barrier_wait -1
	global_inv scope:SCOPE_SE
	ds_load_2addr_b64 v[24:27], v98 offset1:121
	ds_load_2addr_b64 v[28:31], v1 offset0:114 offset1:235
	ds_load_2addr_b64 v[2:5], v35 offset0:86 offset1:207
	ds_load_2addr_b64 v[6:9], v34 offset0:100 offset1:221
	v_and_b32_e32 v10, 0xffff, v33
	v_add_co_u32 v43, s0, 0xf2, v97
	s_wait_alu 0xf1ff
	v_add_co_ci_u32_e64 v11, null, 0, 0, s0
	s_delay_alu instid0(VALU_DEP_3)
	v_lshlrev_b32_e32 v103, 3, v10
	ds_load_b64 v[10:11], v98 offset:7744
	v_mul_u32_u24_e32 v12, 3, v42
	v_mul_u32_u24_e32 v13, 3, v43
	global_wb scope:SCOPE_SE
	s_wait_dscnt 0x0
	s_barrier_signal -1
	s_barrier_wait -1
	v_lshlrev_b32_e32 v102, 3, v12
	v_lshlrev_b32_e32 v101, 3, v13
	global_inv scope:SCOPE_SE
	v_add_f32_e32 v12, v24, v30
	v_sub_f32_e32 v17, v30, v2
	v_add_f32_e32 v37, v29, v9
	v_add_f32_e32 v23, v28, v8
	;; [unrolled: 1-line block ×4, first 2 shown]
	v_dual_add_f32 v19, v6, v4 :: v_dual_sub_f32 v30, v7, v5
	v_dual_add_f32 v18, v26, v6 :: v_dual_sub_f32 v39, v9, v11
	s_delay_alu instid0(VALU_DEP_3) | instskip(SKIP_4) | instid1(VALU_DEP_4)
	v_add_f32_e32 v21, v15, v3
	v_add_f32_e32 v9, v9, v11
	;; [unrolled: 1-line block ×3, first 2 shown]
	v_dual_sub_f32 v6, v6, v4 :: v_dual_add_f32 v37, v37, v11
	v_fma_f32 v32, -0.5, v13, v24
	v_fmac_f32_e32 v29, -0.5, v9
	s_delay_alu instid0(VALU_DEP_4)
	v_fma_f32 v33, -0.5, v16, v25
	v_add_f32_e32 v22, v27, v7
	v_add_f32_e32 v7, v7, v5
	;; [unrolled: 1-line block ×3, first 2 shown]
	v_fma_f32 v26, -0.5, v19, v26
	v_dual_fmamk_f32 v23, v17, 0xbf5db3d7, v33 :: v_dual_sub_f32 v14, v31, v3
	v_add_f32_e32 v35, v22, v5
	v_add_f32_e32 v31, v8, v10
	v_dual_sub_f32 v8, v8, v10 :: v_dual_fmac_f32 v33, 0x3f5db3d7, v17
	v_dual_fmac_f32 v27, -0.5, v7 :: v_dual_add_f32 v20, v12, v2
	s_delay_alu instid0(VALU_DEP_3)
	v_fma_f32 v28, -0.5, v31, v28
	v_add_f32_e32 v34, v18, v4
	v_fmamk_f32 v22, v14, 0x3f5db3d7, v32
	v_fmac_f32_e32 v32, 0xbf5db3d7, v14
	v_fmamk_f32 v24, v30, 0x3f5db3d7, v26
	v_dual_fmac_f32 v26, 0xbf5db3d7, v30 :: v_dual_fmamk_f32 v25, v6, 0xbf5db3d7, v27
	v_dual_fmac_f32 v27, 0x3f5db3d7, v6 :: v_dual_fmamk_f32 v38, v39, 0x3f5db3d7, v28
	;; [unrolled: 1-line block ×3, first 2 shown]
	v_fmac_f32_e32 v29, 0x3f5db3d7, v8
	ds_store_2addr_b64 v103, v[20:21], v[22:23] offset1:1
	ds_store_b64 v103, v[32:33] offset:16
	ds_store_2addr_b64 v102, v[34:35], v[24:25] offset1:1
	ds_store_b64 v102, v[26:27] offset:16
	;; [unrolled: 2-line block ×3, first 2 shown]
	global_wb scope:SCOPE_SE
	s_wait_dscnt 0x0
	s_barrier_signal -1
	s_barrier_wait -1
	global_inv scope:SCOPE_SE
	s_and_saveexec_b32 s0, vcc_lo
	s_cbranch_execz .LBB0_3
; %bb.2:
	v_add_nc_u32_e32 v2, 0x800, v98
	ds_load_2addr_b64 v[32:35], v1 offset0:70 offset1:169
	ds_load_2addr_b64 v[24:27], v2 offset0:140 offset1:239
	v_add_nc_u32_e32 v1, 0x1000, v98
	ds_load_2addr_b64 v[20:23], v98 offset1:99
	ds_load_2addr_b64 v[28:31], v0 offset0:24 offset1:123
	ds_load_b64 v[40:41], v98 offset:7920
	ds_load_2addr_b64 v[36:39], v1 offset0:82 offset1:181
.LBB0_3:
	s_wait_alu 0xfffe
	s_or_b32 exec_lo, exec_lo, s0
	v_and_b32_e32 v44, 0xff, v97
	s_delay_alu instid0(VALU_DEP_1) | instskip(NEXT) | instid1(VALU_DEP_1)
	v_mul_lo_u16 v0, 0xab, v44
	v_lshrrev_b16 v100, 9, v0
	s_delay_alu instid0(VALU_DEP_1) | instskip(SKIP_1) | instid1(VALU_DEP_2)
	v_mul_lo_u16 v0, v100, 3
	v_and_b32_e32 v100, 0xffff, v100
	v_sub_nc_u16 v0, v97, v0
	s_delay_alu instid0(VALU_DEP_1) | instskip(NEXT) | instid1(VALU_DEP_1)
	v_and_b32_e32 v99, 0xff, v0
	v_mul_u32_u24_e32 v0, 10, v99
	s_delay_alu instid0(VALU_DEP_1)
	v_lshlrev_b32_e32 v8, 3, v0
	s_clause 0x4
	global_load_b128 v[16:19], v8, s[10:11]
	global_load_b128 v[12:15], v8, s[10:11] offset:16
	global_load_b128 v[4:7], v8, s[10:11] offset:32
	;; [unrolled: 1-line block ×4, first 2 shown]
	global_wb scope:SCOPE_SE
	s_wait_loadcnt_dscnt 0x0
	s_barrier_signal -1
	s_barrier_wait -1
	global_inv scope:SCOPE_SE
	v_mul_f32_e32 v55, v22, v17
	v_mul_f32_e32 v54, v23, v17
	v_dual_mul_f32 v56, v33, v19 :: v_dual_mul_f32 v57, v35, v13
	s_delay_alu instid0(VALU_DEP_3)
	v_dual_mul_f32 v66, v41, v11 :: v_dual_fmac_f32 v55, v23, v16
	v_dual_mul_f32 v53, v32, v19 :: v_dual_mul_f32 v52, v34, v13
	v_mul_f32_e32 v51, v24, v15
	v_dual_mul_f32 v60, v25, v15 :: v_dual_mul_f32 v61, v27, v5
	v_dual_mul_f32 v50, v26, v5 :: v_dual_mul_f32 v49, v36, v7
	;; [unrolled: 1-line block ×6, first 2 shown]
	v_fma_f32 v59, v22, v16, -v54
	v_fma_f32 v58, v32, v18, -v56
	;; [unrolled: 1-line block ×3, first 2 shown]
	v_dual_fmac_f32 v53, v33, v18 :: v_dual_fmac_f32 v52, v35, v12
	v_fma_f32 v57, v34, v12, -v57
	v_fma_f32 v56, v24, v14, -v60
	v_dual_fmac_f32 v51, v25, v14 :: v_dual_fmac_f32 v50, v27, v4
	v_fma_f32 v54, v26, v4, -v61
	v_fma_f32 v36, v36, v6, -v62
	;; [unrolled: 3-line block ×3, first 2 shown]
	v_dual_fmac_f32 v45, v41, v10 :: v_dual_fmac_f32 v46, v31, v8
	v_dual_fmac_f32 v47, v29, v2 :: v_dual_add_f32 v22, v59, v32
	v_fma_f32 v33, v30, v8, -v65
	v_sub_f32_e32 v92, v59, v32
	s_delay_alu instid0(VALU_DEP_4) | instskip(SKIP_1) | instid1(VALU_DEP_4)
	v_dual_add_f32 v24, v55, v45 :: v_dual_add_f32 v25, v53, v46
	v_dual_sub_f32 v65, v55, v45 :: v_dual_add_f32 v26, v57, v34
	v_add_f32_e32 v23, v58, v33
	v_dual_sub_f32 v106, v58, v33 :: v_dual_sub_f32 v67, v53, v46
	v_dual_add_f32 v27, v52, v47 :: v_dual_sub_f32 v66, v51, v48
	v_dual_add_f32 v29, v51, v48 :: v_dual_sub_f32 v112, v56, v35
	v_dual_add_f32 v31, v50, v49 :: v_dual_mul_f32 v64, 0xbf0a6770, v92
	v_dual_sub_f32 v111, v54, v36 :: v_dual_mul_f32 v104, 0xbf68dda4, v65
	v_dual_sub_f32 v68, v50, v49 :: v_dual_mul_f32 v63, 0xbf68dda4, v106
	s_delay_alu instid0(VALU_DEP_4) | instskip(NEXT) | instid1(VALU_DEP_2)
	v_dual_mul_f32 v110, 0x3f7d64f0, v66 :: v_dual_mul_f32 v113, 0x3f7d64f0, v112
	v_dual_mul_f32 v60, 0xbe903f40, v111 :: v_dual_mul_f32 v37, 0xbe903f40, v68
	v_fma_f32 v94, 0x3f575c64, v24, -v64
	v_mul_f32_e32 v41, 0xbf0a6770, v65
	v_dual_sub_f32 v109, v57, v34 :: v_dual_add_f32 v28, v56, v35
	v_dual_mul_f32 v91, 0xbf4178ce, v67 :: v_dual_mul_f32 v38, 0xbf4178ce, v66
	v_fma_f32 v124, 0xbf75a155, v31, -v60
	v_dual_fmamk_f32 v95, v22, 0x3ed4b147, v104 :: v_dual_add_f32 v94, v21, v94
	v_fma_f32 v128, 0xbe11bafb, v29, -v113
	v_fmamk_f32 v93, v22, 0x3f575c64, v41
	v_dual_mul_f32 v108, 0xbf68dda4, v92 :: v_dual_sub_f32 v69, v52, v47
	v_add_f32_e32 v30, v54, v36
	v_dual_mul_f32 v62, 0xbf7d64f0, v109 :: v_dual_add_f32 v95, v20, v95
	v_fma_f32 v115, 0x3ed4b147, v25, -v63
	v_dual_fmamk_f32 v119, v23, 0xbf27a4f4, v91 :: v_dual_fmamk_f32 v120, v28, 0xbf27a4f4, v38
	v_dual_add_f32 v93, v20, v93 :: v_dual_mul_f32 v40, 0xbf68dda4, v67
	v_fma_f32 v116, 0x3ed4b147, v24, -v108
	v_mul_f32_e32 v107, 0xbf4178ce, v106
	v_dual_mul_f32 v39, 0xbf7d64f0, v69 :: v_dual_add_f32 v94, v115, v94
	v_dual_mul_f32 v70, 0x3f0a6770, v68 :: v_dual_add_f32 v95, v119, v95
	v_fmamk_f32 v96, v23, 0x3ed4b147, v40
	v_fma_f32 v118, 0xbe11bafb, v27, -v62
	v_dual_mul_f32 v105, 0x3e903f40, v109 :: v_dual_add_f32 v116, v21, v116
	v_fma_f32 v122, 0xbf27a4f4, v25, -v107
	v_mul_f32_e32 v71, 0x3e903f40, v69
	s_delay_alu instid0(VALU_DEP_4) | instskip(NEXT) | instid1(VALU_DEP_4)
	v_dual_add_f32 v93, v96, v93 :: v_dual_add_f32 v94, v118, v94
	v_fma_f32 v126, 0xbf75a155, v27, -v105
	s_delay_alu instid0(VALU_DEP_4) | instskip(SKIP_3) | instid1(VALU_DEP_4)
	v_dual_add_f32 v96, v122, v116 :: v_dual_fmamk_f32 v127, v28, 0xbe11bafb, v110
	v_mul_f32_e32 v61, 0xbf4178ce, v112
	v_fmamk_f32 v125, v26, 0xbf75a155, v71
	v_fmamk_f32 v123, v30, 0xbf75a155, v37
	v_add_f32_e32 v96, v126, v96
	v_fmamk_f32 v115, v30, 0x3f575c64, v70
	v_fma_f32 v121, 0xbf27a4f4, v29, -v61
	s_delay_alu instid0(VALU_DEP_3) | instskip(SKIP_2) | instid1(VALU_DEP_3)
	v_dual_add_f32 v95, v125, v95 :: v_dual_add_f32 v96, v128, v96
	v_fmamk_f32 v117, v26, 0xbe11bafb, v39
	v_mul_f32_e32 v114, 0x3f0a6770, v111
	v_dual_add_f32 v94, v121, v94 :: v_dual_add_f32 v95, v127, v95
	s_delay_alu instid0(VALU_DEP_3) | instskip(NEXT) | instid1(VALU_DEP_3)
	v_add_f32_e32 v93, v117, v93
	v_fma_f32 v116, 0x3f575c64, v31, -v114
	s_delay_alu instid0(VALU_DEP_3) | instskip(NEXT) | instid1(VALU_DEP_3)
	v_dual_add_f32 v94, v124, v94 :: v_dual_add_f32 v95, v115, v95
	v_add_f32_e32 v93, v120, v93
	s_delay_alu instid0(VALU_DEP_1)
	v_dual_add_f32 v96, v116, v96 :: v_dual_add_f32 v93, v123, v93
	s_and_saveexec_b32 s0, vcc_lo
	s_cbranch_execz .LBB0_5
; %bb.4:
	v_dual_mul_f32 v137, 0xbe903f40, v65 :: v_dual_mul_f32 v150, 0xbe903f40, v112
	v_dual_mul_f32 v147, 0x3f7d64f0, v106 :: v_dual_mul_f32 v152, 0x3f7d64f0, v67
	v_mul_f32_e32 v143, 0xbf7d64f0, v111
	s_delay_alu instid0(VALU_DEP_3)
	v_fma_f32 v117, 0xbf75a155, v22, -v137
	v_mul_f32_e32 v140, 0x3f0a6770, v67
	v_mul_f32_e32 v144, 0xbf4178ce, v92
	v_fma_f32 v155, 0xbe11bafb, v23, -v152
	v_mul_f32_e32 v145, 0x3f68dda4, v66
	v_add_f32_e32 v117, v20, v117
	v_fma_f32 v118, 0x3f575c64, v23, -v140
	v_mul_f32_e32 v125, 0xbe903f40, v92
	v_mul_f32_e32 v92, 0xbf7d64f0, v92
	v_fma_f32 v148, 0x3ed4b147, v28, -v145
	v_mul_f32_e32 v132, 0xbf75a155, v27
	v_dual_mul_f32 v121, 0x3ed4b147, v22 :: v_dual_mul_f32 v122, 0x3ed4b147, v24
	v_fmamk_f32 v115, v24, 0xbf75a155, v125
	v_mul_f32_e32 v130, 0x3f0a6770, v106
	v_dual_mul_f32 v135, 0xbf27a4f4, v29 :: v_dual_fmamk_f32 v146, v24, 0xbf27a4f4, v144
	s_delay_alu instid0(VALU_DEP_4) | instskip(NEXT) | instid1(VALU_DEP_4)
	v_dual_mul_f32 v159, 0x3f68dda4, v68 :: v_dual_add_f32 v108, v108, v122
	v_add_f32_e32 v115, v21, v115
	s_delay_alu instid0(VALU_DEP_4) | instskip(SKIP_3) | instid1(VALU_DEP_4)
	v_fmamk_f32 v116, v25, 0x3f575c64, v130
	v_mul_f32_e32 v134, 0xbf4178ce, v109
	v_mul_f32_e32 v149, 0xbf7d64f0, v68
	v_fma_f32 v160, 0x3ed4b147, v30, -v159
	v_dual_fmamk_f32 v154, v29, 0xbf75a155, v150 :: v_dual_add_f32 v115, v116, v115
	s_delay_alu instid0(VALU_DEP_4) | instskip(SKIP_3) | instid1(VALU_DEP_4)
	v_dual_mul_f32 v133, 0xbf27a4f4, v28 :: v_dual_fmamk_f32 v116, v27, 0xbf27a4f4, v134
	v_mul_f32_e32 v138, 0x3f68dda4, v112
	v_fma_f32 v153, 0xbe11bafb, v30, -v149
	v_mul_f32_e32 v106, 0x3e903f40, v106
	v_dual_mul_f32 v112, 0xbf0a6770, v112 :: v_dual_add_f32 v115, v116, v115
	s_delay_alu instid0(VALU_DEP_4) | instskip(SKIP_1) | instid1(VALU_DEP_4)
	v_fmamk_f32 v116, v29, 0x3ed4b147, v138
	v_mul_f32_e32 v142, 0xbf4178ce, v69
	v_fmamk_f32 v157, v25, 0xbf75a155, v106
	v_dual_mul_f32 v126, 0xbf27a4f4, v23 :: v_dual_mul_f32 v127, 0xbf27a4f4, v25
	s_delay_alu instid0(VALU_DEP_4) | instskip(NEXT) | instid1(VALU_DEP_4)
	v_dual_add_f32 v115, v116, v115 :: v_dual_add_f32 v116, v118, v117
	v_fma_f32 v117, 0xbf27a4f4, v26, -v142
	v_fmamk_f32 v118, v31, 0xbe11bafb, v143
	v_mul_f32_e32 v161, 0xbf7d64f0, v65
	v_dual_mul_f32 v119, 0x3f575c64, v22 :: v_dual_mul_f32 v120, 0x3f575c64, v24
	s_delay_alu instid0(VALU_DEP_4) | instskip(NEXT) | instid1(VALU_DEP_4)
	v_add_f32_e32 v117, v117, v116
	v_dual_mul_f32 v131, 0xbf75a155, v26 :: v_dual_add_f32 v116, v118, v115
	v_dual_add_f32 v115, v21, v146 :: v_dual_mul_f32 v146, 0xbf0a6770, v109
	s_delay_alu instid0(VALU_DEP_3) | instskip(SKIP_3) | instid1(VALU_DEP_3)
	v_add_f32_e32 v117, v148, v117
	v_mul_f32_e32 v148, 0xbf4178ce, v65
	v_dual_mul_f32 v123, 0x3ed4b147, v23 :: v_dual_mul_f32 v124, 0x3ed4b147, v25
	v_dual_mul_f32 v136, 0xbe11bafb, v28 :: v_dual_mul_f32 v139, 0xbe11bafb, v29
	v_fma_f32 v151, 0xbf27a4f4, v22, -v148
	v_fmamk_f32 v118, v25, 0xbe11bafb, v147
	v_add_f32_e32 v105, v105, v132
	v_dual_sub_f32 v41, v119, v41 :: v_dual_fmac_f32 v142, 0xbf27a4f4, v26
	s_delay_alu instid0(VALU_DEP_4) | instskip(NEXT) | instid1(VALU_DEP_4)
	v_add_f32_e32 v151, v20, v151
	v_dual_add_f32 v115, v118, v115 :: v_dual_fmamk_f32 v118, v27, 0x3f575c64, v146
	v_mul_f32_e32 v141, 0xbf75a155, v30
	v_dual_mul_f32 v128, 0xbe11bafb, v26 :: v_dual_mul_f32 v129, 0xbe11bafb, v27
	v_dual_sub_f32 v91, v126, v91 :: v_dual_add_f32 v64, v64, v120
	s_delay_alu instid0(VALU_DEP_4) | instskip(SKIP_2) | instid1(VALU_DEP_3)
	v_dual_add_f32 v118, v118, v115 :: v_dual_add_f32 v115, v153, v117
	v_dual_add_f32 v108, v21, v108 :: v_dual_fmac_f32 v137, 0xbf75a155, v22
	v_fmac_f32_e32 v159, 0x3ed4b147, v30
	v_dual_add_f32 v117, v154, v118 :: v_dual_fmamk_f32 v154, v24, 0xbe11bafb, v92
	v_add_f32_e32 v118, v155, v151
	v_mul_f32_e32 v155, 0x3f68dda4, v111
	v_add_f32_e32 v107, v107, v127
	s_delay_alu instid0(VALU_DEP_4) | instskip(SKIP_3) | instid1(VALU_DEP_4)
	v_dual_mul_f32 v111, 0xbf4178ce, v111 :: v_dual_add_f32 v154, v21, v154
	v_mul_f32_e32 v109, 0x3f68dda4, v109
	v_mul_f32_e32 v127, 0x3f575c64, v31
	v_fmac_f32_e32 v145, 0x3ed4b147, v28
	v_fmamk_f32 v122, v31, 0xbf27a4f4, v111
	s_delay_alu instid0(VALU_DEP_4) | instskip(SKIP_3) | instid1(VALU_DEP_4)
	v_dual_add_f32 v154, v157, v154 :: v_dual_fmamk_f32 v157, v27, 0x3ed4b147, v109
	v_mul_f32_e32 v156, 0xbf0a6770, v69
	v_mul_f32_e32 v68, 0xbf4178ce, v68
	v_sub_f32_e32 v40, v123, v40
	v_dual_fmac_f32 v140, 0x3f575c64, v23 :: v_dual_add_f32 v65, v157, v154
	v_fmamk_f32 v154, v29, 0x3f575c64, v112
	v_fma_f32 v151, 0x3f575c64, v26, -v156
	v_fmamk_f32 v158, v31, 0x3ed4b147, v155
	v_mul_f32_e32 v157, 0x3e903f40, v67
	v_dual_sub_f32 v39, v128, v39 :: v_dual_fmac_f32 v156, 0x3f575c64, v26
	v_add_f32_e32 v65, v154, v65
	v_mul_f32_e32 v153, 0xbe903f40, v66
	v_add_f32_e32 v118, v151, v118
	v_mul_f32_e32 v154, 0x3f575c64, v30
	v_fmac_f32_e32 v149, 0xbe11bafb, v30
	v_sub_f32_e32 v38, v133, v38
	v_fma_f32 v151, 0xbf75a155, v28, -v153
	s_delay_alu instid0(VALU_DEP_1) | instskip(SKIP_3) | instid1(VALU_DEP_4)
	v_dual_fmac_f32 v152, 0xbe11bafb, v23 :: v_dual_add_f32 v151, v151, v118
	v_add_f32_e32 v118, v158, v117
	v_dual_add_f32 v41, v20, v41 :: v_dual_fmac_f32 v148, 0xbf27a4f4, v22
	v_add_f32_e32 v55, v21, v55
	v_add_f32_e32 v117, v160, v151
	v_fma_f32 v151, 0xbe11bafb, v22, -v161
	s_delay_alu instid0(VALU_DEP_4) | instskip(NEXT) | instid1(VALU_DEP_4)
	v_dual_add_f32 v40, v40, v41 :: v_dual_fmac_f32 v153, 0xbf75a155, v28
	v_add_f32_e32 v53, v55, v53
	v_add_f32_e32 v55, v20, v59
	s_delay_alu instid0(VALU_DEP_4) | instskip(SKIP_2) | instid1(VALU_DEP_4)
	v_add_f32_e32 v67, v20, v151
	v_fma_f32 v151, 0xbf75a155, v23, -v157
	v_dual_sub_f32 v59, v154, v70 :: v_dual_add_f32 v70, v21, v64
	v_dual_add_f32 v52, v53, v52 :: v_dual_add_f32 v53, v55, v58
	s_delay_alu instid0(VALU_DEP_3) | instskip(SKIP_4) | instid1(VALU_DEP_3)
	v_add_f32_e32 v151, v151, v67
	v_add_f32_e32 v67, v122, v65
	v_sub_f32_e32 v65, v121, v104
	v_dual_mul_f32 v121, 0xbf0a6770, v66 :: v_dual_add_f32 v66, v107, v108
	v_dual_sub_f32 v108, v136, v110 :: v_dual_mul_f32 v69, 0x3f68dda4, v69
	v_add_f32_e32 v65, v20, v65
	s_delay_alu instid0(VALU_DEP_3) | instskip(SKIP_1) | instid1(VALU_DEP_4)
	v_dual_add_f32 v39, v39, v40 :: v_dual_add_f32 v66, v105, v66
	v_add_f32_e32 v105, v113, v139
	v_fma_f32 v160, 0x3ed4b147, v26, -v69
	s_delay_alu instid0(VALU_DEP_4) | instskip(NEXT) | instid1(VALU_DEP_4)
	v_add_f32_e32 v65, v91, v65
	v_dual_add_f32 v63, v63, v124 :: v_dual_add_f32 v38, v38, v39
	v_fma_f32 v107, 0x3f575c64, v28, -v121
	s_delay_alu instid0(VALU_DEP_4) | instskip(SKIP_1) | instid1(VALU_DEP_4)
	v_add_f32_e32 v104, v160, v151
	v_sub_f32_e32 v71, v131, v71
	v_add_f32_e32 v55, v63, v70
	v_dual_add_f32 v51, v52, v51 :: v_dual_add_f32 v52, v53, v57
	v_add_f32_e32 v53, v62, v129
	v_add_f32_e32 v91, v107, v104
	s_delay_alu instid0(VALU_DEP_3) | instskip(NEXT) | instid1(VALU_DEP_3)
	v_dual_add_f32 v107, v114, v127 :: v_dual_add_f32 v50, v51, v50
	v_dual_add_f32 v51, v52, v56 :: v_dual_add_f32 v52, v53, v55
	v_add_f32_e32 v53, v61, v135
	v_add_f32_e32 v71, v71, v65
	s_delay_alu instid0(VALU_DEP_4) | instskip(NEXT) | instid1(VALU_DEP_4)
	v_add_f32_e32 v41, v50, v49
	v_add_f32_e32 v49, v51, v54
	s_delay_alu instid0(VALU_DEP_4) | instskip(NEXT) | instid1(VALU_DEP_4)
	v_dual_fmac_f32 v161, 0xbe11bafb, v22 :: v_dual_add_f32 v50, v53, v52
	v_add_f32_e32 v71, v108, v71
	v_add_f32_e32 v105, v105, v66
	;; [unrolled: 1-line block ×3, first 2 shown]
	v_dual_add_f32 v48, v49, v36 :: v_dual_fmac_f32 v157, 0xbf75a155, v23
	s_delay_alu instid0(VALU_DEP_4) | instskip(NEXT) | instid1(VALU_DEP_3)
	v_add_f32_e32 v64, v59, v71
	v_dual_add_f32 v65, v107, v105 :: v_dual_add_f32 v40, v41, v47
	s_delay_alu instid0(VALU_DEP_3)
	v_add_f32_e32 v35, v48, v35
	v_fmac_f32_e32 v69, 0x3ed4b147, v26
	v_fma_f32 v41, 0xbf75a155, v24, -v125
	v_fma_f32 v104, 0xbf27a4f4, v30, -v68
	v_add_f32_e32 v39, v40, v46
	v_add_f32_e32 v40, v35, v34
	v_fma_f32 v46, 0x3f575c64, v25, -v130
	v_dual_add_f32 v41, v21, v41 :: v_dual_fmac_f32 v68, 0xbf27a4f4, v30
	s_delay_alu instid0(VALU_DEP_4) | instskip(NEXT) | instid1(VALU_DEP_4)
	v_add_f32_e32 v34, v39, v45
	v_add_f32_e32 v33, v40, v33
	v_fma_f32 v40, 0xbe11bafb, v25, -v147
	v_add_f32_e32 v39, v20, v137
	v_dual_add_f32 v66, v104, v91 :: v_dual_fmac_f32 v121, 0x3f575c64, v28
	s_delay_alu instid0(VALU_DEP_4)
	v_add_f32_e32 v33, v33, v32
	v_fma_f32 v32, 0xbf27a4f4, v24, -v144
	v_fma_f32 v24, 0xbe11bafb, v24, -v92
	v_add_f32_e32 v39, v140, v39
	v_fma_f32 v23, 0x3ed4b147, v27, -v109
	v_mul_f32_e32 v158, 0xbf75a155, v31
	v_add_f32_e32 v32, v21, v32
	v_add_f32_e32 v21, v21, v24
	v_fma_f32 v24, 0xbf75a155, v25, -v106
	v_add_f32_e32 v39, v142, v39
	v_mul_u32_u24_e32 v25, 33, v100
	v_add_f32_e32 v32, v40, v32
	v_fma_f32 v40, 0x3f575c64, v27, -v146
	v_add_f32_e32 v21, v24, v21
	v_fma_f32 v24, 0x3ed4b147, v31, -v155
	v_fma_f32 v26, 0xbf27a4f4, v31, -v111
	v_add_lshl_u32 v25, v25, v99, 3
	v_add_f32_e32 v32, v40, v32
	v_dual_add_f32 v40, v20, v148 :: v_dual_sub_f32 v37, v141, v37
	v_add_f32_e32 v20, v20, v161
	v_add_f32_e32 v21, v23, v21
	v_fma_f32 v23, 0x3f575c64, v29, -v112
	s_delay_alu instid0(VALU_DEP_4) | instskip(NEXT) | instid1(VALU_DEP_4)
	v_dual_add_f32 v22, v152, v40 :: v_dual_add_f32 v35, v37, v38
	v_add_f32_e32 v20, v157, v20
	v_fma_f32 v38, 0xbf27a4f4, v27, -v134
	s_delay_alu instid0(VALU_DEP_3) | instskip(NEXT) | instid1(VALU_DEP_1)
	v_dual_add_f32 v23, v23, v21 :: v_dual_add_f32 v22, v156, v22
	v_dual_add_f32 v20, v69, v20 :: v_dual_add_f32 v23, v26, v23
	s_delay_alu instid0(VALU_DEP_2) | instskip(NEXT) | instid1(VALU_DEP_1)
	v_dual_add_f32 v22, v153, v22 :: v_dual_add_f32 v37, v46, v41
	v_dual_add_f32 v27, v121, v20 :: v_dual_add_f32 v20, v159, v22
	s_delay_alu instid0(VALU_DEP_2) | instskip(SKIP_1) | instid1(VALU_DEP_1)
	v_add_f32_e32 v37, v38, v37
	v_fma_f32 v38, 0x3ed4b147, v29, -v138
	v_dual_add_f32 v22, v68, v27 :: v_dual_add_f32 v37, v38, v37
	v_fma_f32 v38, 0xbe11bafb, v31, -v143
	s_delay_alu instid0(VALU_DEP_1) | instskip(SKIP_2) | instid1(VALU_DEP_2)
	v_dual_add_f32 v38, v38, v37 :: v_dual_add_f32 v37, v145, v39
	v_fma_f32 v39, 0xbf75a155, v29, -v150
	v_add_f32_e32 v51, v60, v158
	v_dual_add_f32 v37, v149, v37 :: v_dual_add_f32 v32, v39, v32
	s_delay_alu instid0(VALU_DEP_1)
	v_dual_add_f32 v36, v51, v50 :: v_dual_add_f32 v21, v24, v32
	ds_store_2addr_b64 v25, v[33:34], v[35:36] offset1:3
	ds_store_2addr_b64 v25, v[64:65], v[66:67] offset0:6 offset1:9
	ds_store_2addr_b64 v25, v[117:118], v[115:116] offset0:12 offset1:15
	;; [unrolled: 1-line block ×4, first 2 shown]
	ds_store_b64 v25, v[93:94] offset:240
.LBB0_5:
	s_wait_alu 0xfffe
	s_or_b32 exec_lo, exec_lo, s0
	v_mul_lo_u16 v20, 0xf9, v44
	v_and_b32_e32 v21, 0xff, v42
	v_and_b32_e32 v22, 0xffff, v43
	global_wb scope:SCOPE_SE
	s_wait_dscnt 0x0
	s_barrier_signal -1
	v_lshrrev_b16 v23, 13, v20
	v_mul_lo_u16 v20, 0xf9, v21
	v_mul_u32_u24_e32 v21, 0xf83f, v22
	s_barrier_wait -1
	global_inv scope:SCOPE_SE
	v_mul_lo_u16 v22, v23, 33
	v_lshrrev_b16 v40, 13, v20
	v_lshrrev_b32_e32 v41, 21, v21
	s_delay_alu instid0(VALU_DEP_3) | instskip(NEXT) | instid1(VALU_DEP_3)
	v_sub_nc_u16 v20, v97, v22
	v_mul_lo_u16 v21, v40, 33
	s_delay_alu instid0(VALU_DEP_3) | instskip(NEXT) | instid1(VALU_DEP_3)
	v_mul_lo_u16 v22, v41, 33
	v_and_b32_e32 v44, 0xff, v20
	s_delay_alu instid0(VALU_DEP_3) | instskip(NEXT) | instid1(VALU_DEP_3)
	v_sub_nc_u16 v20, v42, v21
	v_sub_nc_u16 v22, v43, v22
	s_delay_alu instid0(VALU_DEP_3) | instskip(NEXT) | instid1(VALU_DEP_3)
	v_lshlrev_b32_e32 v21, 4, v44
	v_and_b32_e32 v45, 0xff, v20
	s_delay_alu instid0(VALU_DEP_3)
	v_lshlrev_b16 v20, 4, v22
	v_mad_u16 v22, 0x63, v41, v22
	global_load_b128 v[32:35], v21, s[10:11] offset:240
	v_lshlrev_b32_e32 v21, 4, v45
	global_load_b128 v[24:27], v21, s[10:11] offset:240
	v_and_b32_e32 v20, 0xffff, v20
	s_delay_alu instid0(VALU_DEP_1)
	v_add_co_u32 v20, s0, s10, v20
	s_wait_alu 0xf1ff
	v_add_co_ci_u32_e64 v21, null, s11, 0, s0
	v_add_co_u32 v91, s0, s8, v98
	s_wait_alu 0xf1ff
	v_add_co_ci_u32_e64 v92, null, s9, 0, s0
	global_load_b128 v[28:31], v[20:21], off offset:240
	v_add_nc_u32_e32 v20, 0x400, v98
	v_add_nc_u32_e32 v21, 0x1400, v98
	ds_load_2addr_b64 v[56:59], v20 offset0:114 offset1:235
	ds_load_2addr_b64 v[36:39], v21 offset0:86 offset1:207
	v_and_b32_e32 v21, 0xffff, v23
	v_and_b32_e32 v23, 0xffff, v40
	v_add_nc_u32_e32 v42, 0xc00, v98
	s_delay_alu instid0(VALU_DEP_3) | instskip(NEXT) | instid1(VALU_DEP_3)
	v_mul_u32_u24_e32 v46, 0x63, v21
	v_mul_u32_u24_e32 v23, 0x63, v23
	s_wait_loadcnt_dscnt 0x100
	v_mul_f32_e32 v49, v38, v27
	v_mul_f32_e32 v48, v39, v27
	s_delay_alu instid0(VALU_DEP_3)
	v_add_lshl_u32 v105, v23, v45, 3
	v_mul_f32_e32 v23, v59, v33
	ds_load_2addr_b64 v[40:43], v42 offset0:100 offset1:221
	v_mul_f32_e32 v45, v37, v35
	v_add_lshl_u32 v106, v46, v44, 3
	v_mul_f32_e32 v44, v58, v33
	v_fma_f32 v23, v58, v32, -v23
	v_and_b32_e32 v47, 0xffff, v22
	ds_load_2addr_b64 v[60:63], v98 offset1:121
	ds_load_b64 v[21:22], v98 offset:7744
	v_mul_f32_e32 v46, v36, v35
	v_fmac_f32_e32 v44, v59, v32
	v_fma_f32 v36, v36, v34, -v45
	v_fma_f32 v38, v38, v26, -v48
	global_wb scope:SCOPE_SE
	s_wait_loadcnt_dscnt 0x0
	v_fmac_f32_e32 v46, v37, v34
	s_barrier_signal -1
	s_barrier_wait -1
	global_inv scope:SCOPE_SE
	v_dual_add_f32 v50, v23, v36 :: v_dual_mul_f32 v45, v41, v25
	v_add_f32_e32 v48, v60, v23
	v_dual_mul_f32 v47, v40, v25 :: v_dual_lshlrev_b32 v104, 3, v47
	s_delay_alu instid0(VALU_DEP_3) | instskip(NEXT) | instid1(VALU_DEP_3)
	v_fma_f32 v37, v40, v24, -v45
	v_dual_fmac_f32 v49, v39, v26 :: v_dual_add_f32 v52, v48, v36
	v_mul_f32_e32 v39, v43, v29
	s_delay_alu instid0(VALU_DEP_4)
	v_dual_fmac_f32 v47, v41, v24 :: v_dual_mul_f32 v40, v42, v29
	v_mul_f32_e32 v41, v22, v31
	v_mul_f32_e32 v45, v21, v31
	v_sub_f32_e32 v51, v44, v46
	v_dual_add_f32 v53, v61, v44 :: v_dual_add_f32 v44, v44, v46
	v_fmac_f32_e32 v40, v43, v28
	v_fma_f32 v21, v21, v30, -v41
	v_fma_f32 v64, -0.5, v50, v60
	v_fmac_f32_e32 v45, v22, v30
	v_fma_f32 v65, -0.5, v44, v61
	v_dual_add_f32 v22, v62, v37 :: v_dual_sub_f32 v23, v23, v36
	v_add_f32_e32 v36, v37, v38
	v_fma_f32 v39, v42, v28, -v39
	s_delay_alu instid0(VALU_DEP_3)
	v_dual_sub_f32 v41, v47, v49 :: v_dual_add_f32 v66, v22, v38
	v_add_f32_e32 v43, v47, v49
	v_dual_fmamk_f32 v54, v51, 0x3f5db3d7, v64 :: v_dual_sub_f32 v37, v37, v38
	v_dual_fmac_f32 v64, 0xbf5db3d7, v51 :: v_dual_fmamk_f32 v55, v23, 0xbf5db3d7, v65
	v_fma_f32 v62, -0.5, v36, v62
	v_dual_fmac_f32 v65, 0x3f5db3d7, v23 :: v_dual_sub_f32 v36, v40, v45
	v_dual_add_f32 v23, v39, v21 :: v_dual_add_f32 v38, v57, v40
	v_add_f32_e32 v40, v40, v45
	v_dual_add_f32 v42, v63, v47 :: v_dual_add_f32 v53, v53, v46
	v_add_f32_e32 v22, v56, v39
	v_fmac_f32_e32 v63, -0.5, v43
	v_sub_f32_e32 v39, v39, v21
	v_fma_f32 v56, -0.5, v23, v56
	v_fmac_f32_e32 v57, -0.5, v40
	v_dual_add_f32 v67, v42, v49 :: v_dual_fmamk_f32 v60, v41, 0x3f5db3d7, v62
	v_fmac_f32_e32 v62, 0xbf5db3d7, v41
	s_delay_alu instid0(VALU_DEP_4)
	v_fmamk_f32 v70, v36, 0x3f5db3d7, v56
	v_dual_fmamk_f32 v61, v37, 0xbf5db3d7, v63 :: v_dual_add_f32 v68, v22, v21
	v_fmac_f32_e32 v63, 0x3f5db3d7, v37
	v_dual_add_f32 v69, v38, v45 :: v_dual_fmac_f32 v56, 0xbf5db3d7, v36
	v_fmamk_f32 v71, v39, 0xbf5db3d7, v57
	v_fmac_f32_e32 v57, 0x3f5db3d7, v39
	ds_store_2addr_b64 v106, v[52:53], v[54:55] offset1:33
	ds_store_b64 v106, v[64:65] offset:528
	ds_store_2addr_b64 v105, v[66:67], v[60:61] offset1:33
	ds_store_b64 v105, v[62:63] offset:528
	;; [unrolled: 2-line block ×3, first 2 shown]
	global_wb scope:SCOPE_SE
	s_wait_dscnt 0x0
	s_barrier_signal -1
	s_barrier_wait -1
	global_inv scope:SCOPE_SE
	s_and_saveexec_b32 s0, vcc_lo
	s_cbranch_execz .LBB0_7
; %bb.6:
	v_add_nc_u32_e32 v21, 0x1800, v98
	ds_load_2addr_b64 v[56:59], v21 offset0:24 offset1:123
	v_add_nc_u32_e32 v22, 0x800, v98
	v_add_nc_u32_e32 v21, 0x1000, v98
	s_wait_dscnt 0x0
	v_mov_b32_e32 v95, v58
	ds_load_2addr_b64 v[52:55], v98 offset1:99
	ds_load_2addr_b64 v[64:67], v20 offset0:70 offset1:169
	ds_load_b64 v[93:94], v98 offset:7920
	ds_load_2addr_b64 v[60:63], v22 offset0:140 offset1:239
	ds_load_2addr_b64 v[68:71], v21 offset0:82 offset1:181
	v_mov_b32_e32 v96, v59
.LBB0_7:
	s_wait_alu 0xfffe
	s_or_b32 exec_lo, exec_lo, s0
	v_add_nc_u32_e32 v20, 0xffffff9d, v97
	s_delay_alu instid0(VALU_DEP_1) | instskip(NEXT) | instid1(VALU_DEP_1)
	v_cndmask_b32_e32 v20, v20, v97, vcc_lo
	v_mul_i32_i24_e32 v21, 0x50, v20
	v_mul_hi_i32_i24_e32 v20, 0x50, v20
	s_delay_alu instid0(VALU_DEP_2) | instskip(SKIP_1) | instid1(VALU_DEP_2)
	v_add_co_u32 v48, s0, s10, v21
	s_wait_alu 0xf1ff
	v_add_co_ci_u32_e64 v49, s0, s11, v20, s0
	s_clause 0x4
	global_load_b128 v[44:47], v[48:49], off offset:768
	global_load_b128 v[40:43], v[48:49], off offset:784
	;; [unrolled: 1-line block ×5, first 2 shown]
	s_wait_loadcnt_dscnt 0x403
	v_dual_mul_f32 v58, v55, v45 :: v_dual_mul_f32 v117, v64, v47
	s_wait_loadcnt_dscnt 0x301
	v_dual_mul_f32 v114, v67, v41 :: v_dual_mul_f32 v113, v60, v43
	s_wait_loadcnt_dscnt 0x200
	v_dual_mul_f32 v122, v63, v21 :: v_dual_mul_f32 v111, v68, v23
	s_wait_loadcnt 0x0
	v_dual_mul_f32 v126, v96, v49 :: v_dual_mul_f32 v127, v94, v51
	v_dual_mul_f32 v108, v95, v49 :: v_dual_fmac_f32 v117, v65, v46
	v_dual_mul_f32 v119, v54, v45 :: v_dual_mul_f32 v116, v61, v43
	v_dual_mul_f32 v123, v69, v23 :: v_dual_mul_f32 v110, v70, v37
	v_mul_f32_e32 v107, v93, v51
	v_fma_f32 v121, v54, v44, -v58
	v_fmac_f32_e32 v113, v61, v42
	v_dual_fmac_f32 v111, v69, v22 :: v_dual_fmac_f32 v108, v96, v48
	v_fma_f32 v61, v93, v50, -v127
	v_dual_mul_f32 v59, v65, v47 :: v_dual_mul_f32 v112, v62, v21
	v_mul_f32_e32 v125, v57, v39
	v_mul_f32_e32 v115, v66, v41
	v_dual_mul_f32 v124, v71, v37 :: v_dual_mul_f32 v109, v56, v39
	v_dual_fmac_f32 v119, v55, v44 :: v_dual_add_f32 v54, v121, v61
	v_fma_f32 v118, v66, v40, -v114
	v_fma_f32 v114, v62, v20, -v122
	;; [unrolled: 1-line block ×3, first 2 shown]
	v_dual_fmac_f32 v107, v94, v50 :: v_dual_sub_f32 v132, v117, v108
	v_sub_f32_e32 v137, v121, v61
	v_fma_f32 v120, v64, v46, -v59
	v_fma_f32 v116, v60, v42, -v116
	s_delay_alu instid0(VALU_DEP_4)
	v_sub_f32_e32 v130, v119, v107
	v_fmac_f32_e32 v112, v63, v20
	v_fmac_f32_e32 v110, v71, v36
	v_fma_f32 v66, v56, v38, -v125
	v_fmac_f32_e32 v115, v67, v40
	v_fma_f32 v67, v70, v36, -v124
	v_dual_fmac_f32 v109, v57, v38 :: v_dual_add_f32 v56, v119, v107
	v_fma_f32 v65, v95, v48, -v126
	v_dual_add_f32 v63, v114, v68 :: v_dual_mul_f32 v146, 0xbf68dda4, v137
	s_delay_alu instid0(VALU_DEP_4) | instskip(NEXT) | instid1(VALU_DEP_3)
	v_dual_sub_f32 v147, v116, v67 :: v_dual_mul_f32 v126, 0xbf0a6770, v130
	v_dual_sub_f32 v143, v120, v65 :: v_dual_sub_f32 v134, v113, v110
	s_delay_alu instid0(VALU_DEP_3) | instskip(SKIP_2) | instid1(VALU_DEP_3)
	v_fma_f32 v96, 0x3ed4b147, v56, -v146
	v_mul_f32_e32 v139, 0xbf68dda4, v130
	v_dual_add_f32 v57, v117, v108 :: v_dual_add_f32 v60, v116, v67
	v_dual_fmamk_f32 v93, v54, 0x3f575c64, v126 :: v_dual_add_f32 v96, v53, v96
	s_delay_alu instid0(VALU_DEP_3)
	v_fmamk_f32 v95, v54, 0x3ed4b147, v139
	v_dual_mul_f32 v70, 0xbf4178ce, v134 :: v_dual_add_f32 v55, v120, v65
	v_add_f32_e32 v62, v113, v110
	v_dual_sub_f32 v145, v118, v66 :: v_dual_sub_f32 v136, v112, v111
	v_dual_mul_f32 v138, 0xbf4178ce, v132 :: v_dual_add_f32 v93, v52, v93
	v_mul_f32_e32 v144, 0xbf4178ce, v143
	v_add_f32_e32 v95, v52, v95
	v_fmamk_f32 v157, v60, 0xbf27a4f4, v70
	v_mul_f32_e32 v140, 0x3f7d64f0, v147
	v_dual_add_f32 v58, v118, v66 :: v_dual_add_f32 v59, v115, v109
	v_dual_add_f32 v64, v112, v111 :: v_dual_mul_f32 v131, 0xbf0a6770, v137
	v_fma_f32 v152, 0xbf27a4f4, v57, -v144
	s_delay_alu instid0(VALU_DEP_4)
	v_fma_f32 v160, 0xbe11bafb, v62, -v140
	v_mul_f32_e32 v141, 0x3e903f40, v145
	v_mul_f32_e32 v127, 0xbf68dda4, v143
	v_fma_f32 v94, 0x3f575c64, v56, -v131
	v_dual_add_f32 v96, v152, v96 :: v_dual_sub_f32 v133, v115, v109
	v_sub_f32_e32 v148, v114, v68
	v_fma_f32 v156, 0xbf75a155, v59, -v141
	v_mul_f32_e32 v125, 0xbf7d64f0, v145
	v_fma_f32 v150, 0x3ed4b147, v57, -v127
	v_dual_add_f32 v94, v53, v94 :: v_dual_mul_f32 v123, 0xbf68dda4, v132
	s_delay_alu instid0(VALU_DEP_4) | instskip(NEXT) | instid1(VALU_DEP_4)
	v_add_f32_e32 v96, v156, v96
	v_fma_f32 v154, 0xbe11bafb, v59, -v125
	s_delay_alu instid0(VALU_DEP_3) | instskip(NEXT) | instid1(VALU_DEP_3)
	v_dual_fmamk_f32 v151, v55, 0xbf27a4f4, v138 :: v_dual_add_f32 v94, v150, v94
	v_dual_mul_f32 v71, 0xbf7d64f0, v133 :: v_dual_add_f32 v152, v160, v96
	v_fmamk_f32 v149, v55, 0x3ed4b147, v123
	s_delay_alu instid0(VALU_DEP_3) | instskip(NEXT) | instid1(VALU_DEP_4)
	v_dual_mul_f32 v128, 0x3f7d64f0, v134 :: v_dual_add_f32 v95, v151, v95
	v_add_f32_e32 v94, v154, v94
	s_delay_alu instid0(VALU_DEP_4) | instskip(NEXT) | instid1(VALU_DEP_4)
	v_fmamk_f32 v153, v58, 0xbe11bafb, v71
	v_dual_add_f32 v93, v149, v93 :: v_dual_mul_f32 v124, 0xbf4178ce, v147
	v_mul_f32_e32 v129, 0x3f0a6770, v136
	v_fmamk_f32 v159, v60, 0xbe11bafb, v128
	s_delay_alu instid0(VALU_DEP_3) | instskip(NEXT) | instid1(VALU_DEP_4)
	v_add_f32_e32 v93, v153, v93
	v_fma_f32 v158, 0xbf27a4f4, v62, -v124
	v_mul_f32_e32 v135, 0x3e903f40, v133
	v_fmamk_f32 v149, v63, 0x3f575c64, v129
	s_delay_alu instid0(VALU_DEP_3) | instskip(NEXT) | instid1(VALU_DEP_3)
	v_dual_add_f32 v93, v157, v93 :: v_dual_add_f32 v94, v158, v94
	v_fmamk_f32 v155, v58, 0xbf75a155, v135
	s_delay_alu instid0(VALU_DEP_1) | instskip(SKIP_1) | instid1(VALU_DEP_2)
	v_dual_mul_f32 v122, 0xbe903f40, v148 :: v_dual_add_f32 v95, v155, v95
	v_mul_f32_e32 v142, 0x3f0a6770, v148
	v_fma_f32 v162, 0xbf75a155, v64, -v122
	v_mul_f32_e32 v69, 0xbe903f40, v136
	s_delay_alu instid0(VALU_DEP_4) | instskip(NEXT) | instid1(VALU_DEP_4)
	v_add_f32_e32 v151, v159, v95
	v_fma_f32 v150, 0x3f575c64, v64, -v142
	s_delay_alu instid0(VALU_DEP_3) | instskip(NEXT) | instid1(VALU_DEP_1)
	v_dual_add_f32 v96, v162, v94 :: v_dual_fmamk_f32 v161, v63, 0xbf75a155, v69
	v_dual_add_f32 v94, v150, v152 :: v_dual_add_f32 v95, v161, v93
	s_delay_alu instid0(VALU_DEP_4)
	v_add_f32_e32 v93, v149, v151
	s_and_saveexec_b32 s0, vcc_lo
	s_cbranch_execz .LBB0_9
; %bb.8:
	v_mul_f32_e32 v174, 0xbe903f40, v130
	v_mul_f32_e32 v167, 0x3f0a6770, v143
	v_dual_mul_f32 v171, 0xbf4178ce, v145 :: v_dual_mul_f32 v186, 0xbf4178ce, v130
	v_mul_f32_e32 v181, 0xbf4178ce, v137
	s_delay_alu instid0(VALU_DEP_4) | instskip(SKIP_3) | instid1(VALU_DEP_4)
	v_fma_f32 v151, 0xbf75a155, v54, -v174
	v_mul_f32_e32 v162, 0xbe903f40, v137
	v_fmamk_f32 v150, v57, 0x3f575c64, v167
	v_dual_mul_f32 v175, 0x3f68dda4, v147 :: v_dual_mul_f32 v182, 0x3f68dda4, v134
	v_add_f32_e32 v151, v52, v151
	s_delay_alu instid0(VALU_DEP_4) | instskip(SKIP_3) | instid1(VALU_DEP_4)
	v_dual_fmamk_f32 v149, v56, 0xbf75a155, v162 :: v_dual_mul_f32 v172, 0xbf75a155, v63
	v_mul_f32_e32 v166, 0xbf27a4f4, v60
	v_mul_f32_e32 v177, 0x3f0a6770, v132
	v_fmamk_f32 v183, v56, 0xbf27a4f4, v181
	v_dual_add_f32 v149, v53, v149 :: v_dual_mul_f32 v168, 0xbf27a4f4, v62
	v_dual_mul_f32 v187, 0xbe903f40, v147 :: v_dual_mul_f32 v192, 0xbe903f40, v134
	s_delay_alu instid0(VALU_DEP_4) | instskip(NEXT) | instid1(VALU_DEP_3)
	v_fma_f32 v152, 0x3f575c64, v55, -v177
	v_dual_add_f32 v149, v150, v149 :: v_dual_fmamk_f32 v150, v59, 0xbf27a4f4, v171
	v_fma_f32 v185, 0x3ed4b147, v60, -v182
	s_delay_alu instid0(VALU_DEP_4)
	v_fmamk_f32 v191, v62, 0xbf75a155, v187
	v_mul_f32_e32 v179, 0xbf4178ce, v133
	v_mul_f32_e32 v161, 0xbe11bafb, v58
	v_add_f32_e32 v149, v150, v149
	v_fmamk_f32 v150, v62, 0x3ed4b147, v175
	v_mul_f32_e32 v176, 0x3f575c64, v63
	v_fma_f32 v189, 0xbf27a4f4, v54, -v186
	v_mul_f32_e32 v184, 0x3f7d64f0, v143
	v_dual_mul_f32 v159, 0xbf27a4f4, v55 :: v_dual_mul_f32 v160, 0xbf27a4f4, v57
	v_dual_add_f32 v149, v150, v149 :: v_dual_add_f32 v150, v152, v151
	v_fma_f32 v151, 0xbf27a4f4, v58, -v179
	v_mul_f32_e32 v178, 0x3f575c64, v64
	s_delay_alu instid0(VALU_DEP_4) | instskip(SKIP_1) | instid1(VALU_DEP_4)
	v_dual_mul_f32 v137, 0xbf7d64f0, v137 :: v_dual_add_f32 v144, v144, v160
	v_mul_f32_e32 v130, 0xbf7d64f0, v130
	v_add_f32_e32 v151, v151, v150
	v_dual_mul_f32 v155, 0x3ed4b147, v54 :: v_dual_mul_f32 v156, 0x3ed4b147, v56
	s_delay_alu instid0(VALU_DEP_4) | instskip(NEXT) | instid1(VALU_DEP_4)
	v_fmamk_f32 v194, v56, 0xbe11bafb, v137
	v_fma_f32 v196, 0xbe11bafb, v54, -v130
	s_delay_alu instid0(VALU_DEP_4)
	v_add_f32_e32 v151, v185, v151
	v_mul_f32_e32 v185, 0xbf7d64f0, v136
	v_mul_f32_e32 v190, 0x3f7d64f0, v132
	;; [unrolled: 1-line block ×3, first 2 shown]
	v_sub_f32_e32 v139, v155, v139
	v_dual_mul_f32 v163, 0xbe11bafb, v59 :: v_dual_mul_f32 v170, 0xbe11bafb, v62
	v_fma_f32 v188, 0xbe11bafb, v63, -v185
	v_mul_f32_e32 v180, 0xbf7d64f0, v148
	v_mul_f32_e32 v169, 0xbe11bafb, v60
	v_dual_mul_f32 v164, 0xbf75a155, v58 :: v_dual_mul_f32 v165, 0xbf75a155, v59
	v_dual_mul_f32 v197, 0x3e903f40, v132 :: v_dual_add_f32 v140, v140, v170
	s_delay_alu instid0(VALU_DEP_4) | instskip(SKIP_1) | instid1(VALU_DEP_4)
	v_fmamk_f32 v152, v64, 0xbe11bafb, v180
	v_dual_mul_f32 v153, 0x3f575c64, v54 :: v_dual_mul_f32 v154, 0x3f575c64, v56
	v_sub_f32_e32 v135, v164, v135
	v_dual_mul_f32 v157, 0x3ed4b147, v55 :: v_dual_mul_f32 v158, 0x3ed4b147, v57
	s_delay_alu instid0(VALU_DEP_4) | instskip(SKIP_3) | instid1(VALU_DEP_2)
	v_dual_add_f32 v150, v152, v149 :: v_dual_add_f32 v149, v53, v183
	v_fmamk_f32 v152, v57, 0xbe11bafb, v184
	v_dual_mul_f32 v183, 0xbf0a6770, v145 :: v_dual_mul_f32 v134, 0xbf0a6770, v134
	v_dual_mul_f32 v145, 0x3f68dda4, v145 :: v_dual_sub_f32 v126, v153, v126
	v_dual_add_f32 v149, v152, v149 :: v_dual_fmamk_f32 v152, v59, 0x3f575c64, v183
	v_dual_mul_f32 v173, 0xbf75a155, v64 :: v_dual_sub_f32 v138, v159, v138
	v_dual_sub_f32 v123, v157, v123 :: v_dual_fmac_f32 v186, 0xbf27a4f4, v54
	s_delay_alu instid0(VALU_DEP_3) | instskip(SKIP_3) | instid1(VALU_DEP_4)
	v_add_f32_e32 v152, v152, v149
	v_add_f32_e32 v149, v188, v151
	;; [unrolled: 1-line block ×3, first 2 shown]
	v_mul_f32_e32 v189, 0xbf0a6770, v133
	v_dual_fmac_f32 v185, 0xbe11bafb, v63 :: v_dual_add_f32 v152, v191, v152
	v_mul_f32_e32 v191, 0x3f68dda4, v148
	v_dual_fmac_f32 v179, 0xbf27a4f4, v58 :: v_dual_sub_f32 v128, v169, v128
	v_sub_f32_e32 v70, v166, v70
	v_add_f32_e32 v127, v127, v158
	s_delay_alu instid0(VALU_DEP_4) | instskip(SKIP_2) | instid1(VALU_DEP_3)
	v_dual_fmamk_f32 v193, v64, 0x3ed4b147, v191 :: v_dual_fmac_f32 v182, 0x3ed4b147, v60
	v_dual_fmac_f32 v130, 0xbe11bafb, v54 :: v_dual_sub_f32 v71, v161, v71
	v_fmac_f32_e32 v174, 0xbf75a155, v54
	v_add_f32_e32 v152, v193, v152
	v_add_f32_e32 v193, v53, v194
	v_fma_f32 v188, 0xbe11bafb, v55, -v190
	v_add_f32_e32 v54, v52, v186
	v_fmac_f32_e32 v190, 0xbe11bafb, v55
	s_delay_alu instid0(VALU_DEP_3) | instskip(SKIP_2) | instid1(VALU_DEP_2)
	v_add_f32_e32 v151, v188, v151
	v_fma_f32 v188, 0x3f575c64, v58, -v189
	v_fmac_f32_e32 v189, 0x3f575c64, v58
	v_dual_add_f32 v54, v190, v54 :: v_dual_add_f32 v151, v188, v151
	v_fma_f32 v188, 0xbf75a155, v60, -v192
	v_fmamk_f32 v194, v57, 0xbf75a155, v143
	v_fmac_f32_e32 v192, 0xbf75a155, v60
	s_delay_alu instid0(VALU_DEP_3) | instskip(NEXT) | instid1(VALU_DEP_3)
	v_dual_add_f32 v54, v189, v54 :: v_dual_add_f32 v151, v188, v151
	v_dual_mul_f32 v188, 0x3f68dda4, v136 :: v_dual_add_f32 v193, v194, v193
	v_fmamk_f32 v194, v59, 0x3ed4b147, v145
	v_dual_mul_f32 v136, 0xbf4178ce, v136 :: v_dual_add_f32 v139, v52, v139
	s_delay_alu instid0(VALU_DEP_3) | instskip(SKIP_1) | instid1(VALU_DEP_4)
	v_fma_f32 v195, 0x3ed4b147, v63, -v188
	v_add_f32_e32 v141, v141, v165
	v_add_f32_e32 v132, v194, v193
	;; [unrolled: 1-line block ×5, first 2 shown]
	v_fma_f32 v195, 0xbf75a155, v55, -v197
	v_mul_f32_e32 v196, 0x3f68dda4, v133
	v_fmac_f32_e32 v177, 0x3f575c64, v55
	v_add_f32_e32 v135, v135, v138
	s_delay_alu instid0(VALU_DEP_4) | instskip(NEXT) | instid1(VALU_DEP_4)
	v_dual_add_f32 v133, v146, v156 :: v_dual_add_f32 v146, v195, v194
	v_fma_f32 v156, 0x3ed4b147, v58, -v196
	v_add_f32_e32 v138, v53, v119
	s_delay_alu instid0(VALU_DEP_4) | instskip(NEXT) | instid1(VALU_DEP_4)
	v_add_f32_e32 v128, v128, v135
	v_dual_mul_f32 v148, 0xbf4178ce, v148 :: v_dual_add_f32 v133, v53, v133
	s_delay_alu instid0(VALU_DEP_4) | instskip(SKIP_4) | instid1(VALU_DEP_3)
	v_add_f32_e32 v146, v156, v146
	v_fma_f32 v156, 0x3f575c64, v60, -v134
	v_mul_f32_e32 v147, 0xbf0a6770, v147
	v_add_f32_e32 v117, v138, v117
	v_dual_add_f32 v133, v144, v133 :: v_dual_fmac_f32 v196, 0x3ed4b147, v58
	v_dual_add_f32 v144, v156, v146 :: v_dual_fmamk_f32 v193, v62, 0x3f575c64, v147
	s_delay_alu instid0(VALU_DEP_3) | instskip(NEXT) | instid1(VALU_DEP_3)
	v_add_f32_e32 v115, v117, v115
	v_add_f32_e32 v141, v141, v133
	;; [unrolled: 1-line block ×3, first 2 shown]
	v_fma_f32 v146, 0xbf27a4f4, v63, -v136
	s_delay_alu instid0(VALU_DEP_4) | instskip(SKIP_1) | instid1(VALU_DEP_4)
	v_dual_add_f32 v132, v193, v132 :: v_dual_add_f32 v113, v115, v113
	v_fmamk_f32 v193, v64, 0xbf27a4f4, v148
	v_add_f32_e32 v115, v117, v120
	v_add_f32_e32 v120, v124, v168
	s_delay_alu instid0(VALU_DEP_4) | instskip(SKIP_1) | instid1(VALU_DEP_4)
	v_dual_add_f32 v139, v140, v141 :: v_dual_add_f32 v112, v113, v112
	v_add_f32_e32 v140, v142, v178
	v_add_f32_e32 v113, v115, v118
	;; [unrolled: 1-line block ×5, first 2 shown]
	s_delay_alu instid0(VALU_DEP_4) | instskip(SKIP_2) | instid1(VALU_DEP_4)
	v_dual_add_f32 v119, v140, v139 :: v_dual_add_f32 v112, v113, v116
	v_add_f32_e32 v113, v122, v173
	v_add_f32_e32 v125, v52, v126
	v_dual_add_f32 v110, v111, v110 :: v_dual_fmac_f32 v197, 0xbf75a155, v55
	s_delay_alu instid0(VALU_DEP_4) | instskip(SKIP_1) | instid1(VALU_DEP_3)
	v_add_f32_e32 v111, v112, v114
	v_fma_f32 v112, 0xbf75a155, v56, -v162
	v_dual_fmac_f32 v188, 0x3ed4b147, v63 :: v_dual_add_f32 v109, v110, v109
	v_sub_f32_e32 v129, v176, v129
	v_add_f32_e32 v131, v131, v154
	v_add_f32_e32 v110, v111, v68
	v_dual_add_f32 v111, v53, v112 :: v_dual_add_f32 v54, v192, v54
	s_delay_alu instid0(VALU_DEP_4) | instskip(NEXT) | instid1(VALU_DEP_4)
	v_add_f32_e32 v118, v129, v128
	v_add_f32_e32 v131, v53, v131
	v_fma_f32 v112, 0x3f575c64, v57, -v167
	v_fma_f32 v55, 0x3ed4b147, v59, -v145
	v_fmac_f32_e32 v134, 0x3f575c64, v60
	s_delay_alu instid0(VALU_DEP_4) | instskip(SKIP_1) | instid1(VALU_DEP_2)
	v_dual_add_f32 v132, v146, v144 :: v_dual_add_f32 v127, v127, v131
	v_fmac_f32_e32 v136, 0xbf27a4f4, v63
	v_dual_add_f32 v117, v121, v127 :: v_dual_add_nc_u32 v58, 0x1000, v98
	v_add_f32_e32 v121, v123, v125
	s_delay_alu instid0(VALU_DEP_2) | instskip(NEXT) | instid1(VALU_DEP_2)
	v_add_f32_e32 v115, v120, v117
	v_add_f32_e32 v71, v71, v121
	s_delay_alu instid0(VALU_DEP_1) | instskip(NEXT) | instid1(VALU_DEP_1)
	v_dual_add_f32 v70, v70, v71 :: v_dual_sub_f32 v71, v172, v69
	v_dual_add_f32 v69, v113, v115 :: v_dual_add_f32 v68, v71, v70
	v_dual_add_f32 v70, v109, v108 :: v_dual_add_f32 v71, v110, v67
	v_add_f32_e32 v108, v112, v111
	v_fma_f32 v109, 0xbf27a4f4, v59, -v171
	s_delay_alu instid0(VALU_DEP_3) | instskip(SKIP_1) | instid1(VALU_DEP_3)
	v_dual_add_f32 v67, v70, v107 :: v_dual_add_f32 v66, v71, v66
	v_fma_f32 v70, 0xbf27a4f4, v56, -v181
	v_add_f32_e32 v71, v109, v108
	v_fma_f32 v56, 0xbe11bafb, v56, -v137
	v_add_f32_e32 v107, v52, v174
	v_add_f32_e32 v52, v52, v130
	;; [unrolled: 1-line block ×3, first 2 shown]
	v_fma_f32 v109, 0xbe11bafb, v57, -v184
	v_add_f32_e32 v53, v53, v56
	v_fma_f32 v56, 0xbf75a155, v57, -v143
	v_add_f32_e32 v52, v197, v52
	v_fma_f32 v108, 0x3ed4b147, v62, -v175
	v_dual_add_f32 v65, v66, v65 :: v_dual_add_f32 v66, v177, v107
	s_delay_alu instid0(VALU_DEP_4) | instskip(SKIP_2) | instid1(VALU_DEP_3)
	v_dual_add_f32 v53, v56, v53 :: v_dual_add_f32 v70, v109, v70
	v_fma_f32 v107, 0x3f575c64, v59, -v183
	v_fma_f32 v56, 0xbf27a4f4, v64, -v148
	v_dual_add_f32 v52, v196, v52 :: v_dual_add_f32 v53, v55, v53
	v_fma_f32 v55, 0x3f575c64, v62, -v147
	v_add_f32_e32 v71, v108, v71
	v_fma_f32 v108, 0xbe11bafb, v64, -v180
	v_add_f32_e32 v109, v179, v66
	v_add_f32_e32 v57, v134, v52
	v_dual_add_f32 v55, v55, v53 :: v_dual_add_f32 v52, v188, v54
	s_delay_alu instid0(VALU_DEP_2) | instskip(NEXT) | instid1(VALU_DEP_2)
	v_dual_add_f32 v54, v136, v57 :: v_dual_add_nc_u32 v59, 0x1800, v98
	v_dual_add_f32 v55, v56, v55 :: v_dual_add_nc_u32 v56, 0x400, v98
	v_dual_add_f32 v66, v65, v61 :: v_dual_add_f32 v65, v107, v70
	v_fma_f32 v70, 0xbf75a155, v62, -v187
	v_add_f32_e32 v61, v108, v71
	v_add_f32_e32 v71, v182, v109
	v_add_nc_u32_e32 v57, 0x800, v98
	s_delay_alu instid0(VALU_DEP_4) | instskip(SKIP_1) | instid1(VALU_DEP_1)
	v_add_f32_e32 v65, v70, v65
	v_fma_f32 v70, 0x3ed4b147, v64, -v191
	v_dual_add_f32 v60, v185, v71 :: v_dual_add_f32 v53, v70, v65
	ds_store_2addr_b64 v98, v[66:67], v[68:69] offset1:99
	ds_store_2addr_b64 v56, v[118:119], v[132:133] offset0:70 offset1:169
	ds_store_2addr_b64 v57, v[151:152], v[149:150] offset0:140 offset1:239
	;; [unrolled: 1-line block ×4, first 2 shown]
	ds_store_b64 v98, v[95:96] offset:7920
.LBB0_9:
	s_wait_alu 0xfffe
	s_or_b32 exec_lo, exec_lo, s0
	global_wb scope:SCOPE_SE
	s_wait_dscnt 0x0
	s_barrier_signal -1
	s_barrier_wait -1
	global_inv scope:SCOPE_SE
	global_load_b64 v[56:57], v[91:92], off offset:8712
	v_lshlrev_b32_e32 v52, 3, v97
	s_add_nc_u64 s[0:1], s[8:9], 0x2208
	s_clause 0x7
	global_load_b64 v[68:69], v52, s[0:1] offset:968
	global_load_b64 v[107:108], v52, s[0:1] offset:7744
	global_load_b64 v[109:110], v52, s[0:1] offset:2904
	global_load_b64 v[111:112], v52, s[0:1] offset:5808
	global_load_b64 v[113:114], v52, s[0:1] offset:3872
	global_load_b64 v[115:116], v52, s[0:1] offset:6776
	global_load_b64 v[117:118], v52, s[0:1] offset:1936
	global_load_b64 v[119:120], v52, s[0:1] offset:4840
	ds_load_2addr_b64 v[52:55], v98 offset1:121
	ds_load_b64 v[121:122], v98 offset:7744
	v_add_nc_u32_e32 v124, 0xc00, v98
	v_add_nc_u32_e32 v91, 0x1000, v98
	v_add_nc_u32_e32 v70, 0x400, v98
	v_add_nc_u32_e32 v123, 0x1400, v98
	v_add_nc_u32_e32 v71, 0x800, v98
	s_wait_loadcnt_dscnt 0x801
	v_dual_mul_f32 v59, v53, v57 :: v_dual_add_nc_u32 v92, 0x1800, v98
	s_wait_loadcnt_dscnt 0x600
	v_dual_mul_f32 v58, v52, v57 :: v_dual_mul_f32 v125, v122, v108
	s_delay_alu instid0(VALU_DEP_2) | instskip(NEXT) | instid1(VALU_DEP_2)
	v_fma_f32 v57, v52, v56, -v59
	v_dual_fmac_f32 v58, v53, v56 :: v_dual_mul_f32 v53, v54, v69
	v_dual_mul_f32 v52, v55, v69 :: v_dual_mul_f32 v69, v121, v108
	ds_store_b64 v98, v[57:58]
	ds_load_2addr_b64 v[56:59], v70 offset0:114 offset1:235
	ds_load_2addr_b64 v[60:63], v123 offset0:86 offset1:207
	;; [unrolled: 1-line block ×3, first 2 shown]
	v_fma_f32 v52, v54, v68, -v52
	v_fmac_f32_e32 v53, v55, v68
	v_fma_f32 v68, v121, v107, -v125
	s_wait_loadcnt_dscnt 0x502
	v_dual_fmac_f32 v69, v122, v107 :: v_dual_mul_f32 v54, v59, v110
	s_wait_loadcnt_dscnt 0x401
	v_dual_mul_f32 v55, v58, v110 :: v_dual_mul_f32 v108, v60, v112
	s_wait_loadcnt_dscnt 0x200
	v_dual_mul_f32 v121, v65, v114 :: v_dual_mul_f32 v122, v63, v116
	v_dual_mul_f32 v110, v64, v114 :: v_dual_mul_f32 v107, v61, v112
	s_wait_loadcnt 0x1
	v_mul_f32_e32 v114, v56, v118
	v_dual_mul_f32 v112, v62, v116 :: v_dual_fmac_f32 v55, v59, v109
	s_wait_loadcnt 0x0
	v_dual_mul_f32 v116, v57, v118 :: v_dual_mul_f32 v125, v67, v120
	v_mul_f32_e32 v118, v66, v120
	v_fma_f32 v54, v58, v109, -v54
	v_fma_f32 v109, v64, v113, -v121
	v_fmac_f32_e32 v110, v65, v113
	v_fma_f32 v113, v56, v117, -v116
	v_fmac_f32_e32 v114, v57, v117
	;; [unrolled: 2-line block ×5, first 2 shown]
	ds_store_2addr_b64 v71, v[54:55], v[109:110] offset0:107 offset1:228
	ds_store_2addr_b64 v98, v[52:53], v[113:114] offset0:121 offset1:242
	;; [unrolled: 1-line block ×4, first 2 shown]
	global_wb scope:SCOPE_SE
	s_wait_dscnt 0x0
	s_barrier_signal -1
	s_barrier_wait -1
	global_inv scope:SCOPE_SE
	ds_load_2addr_b64 v[60:63], v98 offset1:121
	ds_load_2addr_b64 v[56:59], v70 offset0:114 offset1:235
	ds_load_2addr_b64 v[52:55], v123 offset0:86 offset1:207
	;; [unrolled: 1-line block ×3, first 2 shown]
	ds_load_b64 v[107:108], v98 offset:7744
	global_wb scope:SCOPE_SE
	s_wait_dscnt 0x0
	s_barrier_signal -1
	s_barrier_wait -1
	global_inv scope:SCOPE_SE
	v_dual_add_f32 v68, v60, v58 :: v_dual_add_f32 v69, v58, v52
	v_dual_sub_f32 v109, v59, v53 :: v_dual_add_f32 v110, v61, v59
	v_sub_f32_e32 v117, v67, v108
	v_add_f32_e32 v59, v59, v53
	v_sub_f32_e32 v111, v58, v52
	v_dual_add_f32 v58, v62, v64 :: v_dual_sub_f32 v113, v65, v55
	v_add_f32_e32 v112, v64, v54
	v_dual_add_f32 v114, v63, v65 :: v_dual_sub_f32 v119, v66, v107
	v_add_f32_e32 v65, v65, v55
	v_sub_f32_e32 v115, v64, v54
	v_add_f32_e32 v64, v56, v66
	v_add_f32_e32 v52, v68, v52
	v_fma_f32 v68, -0.5, v69, v60
	v_fma_f32 v69, -0.5, v59, v61
	v_add_f32_e32 v59, v114, v55
	v_dual_add_f32 v116, v66, v107 :: v_dual_fmac_f32 v63, -0.5, v65
	v_dual_add_f32 v118, v57, v67 :: v_dual_add_f32 v67, v67, v108
	v_add_f32_e32 v58, v58, v54
	v_fma_f32 v62, -0.5, v112, v62
	v_fmamk_f32 v55, v111, 0x3f5db3d7, v69
	v_fma_f32 v56, -0.5, v116, v56
	v_fmac_f32_e32 v57, -0.5, v67
	v_dual_add_f32 v53, v110, v53 :: v_dual_fmamk_f32 v54, v109, 0xbf5db3d7, v68
	v_fmac_f32_e32 v69, 0xbf5db3d7, v111
	s_delay_alu instid0(VALU_DEP_3)
	v_dual_fmac_f32 v68, 0x3f5db3d7, v109 :: v_dual_fmamk_f32 v67, v119, 0x3f5db3d7, v57
	v_fmamk_f32 v60, v113, 0xbf5db3d7, v62
	v_dual_fmac_f32 v62, 0x3f5db3d7, v113 :: v_dual_fmamk_f32 v61, v115, 0x3f5db3d7, v63
	v_fmac_f32_e32 v63, 0xbf5db3d7, v115
	v_dual_add_f32 v64, v64, v107 :: v_dual_add_f32 v65, v118, v108
	v_dual_fmamk_f32 v66, v117, 0xbf5db3d7, v56 :: v_dual_fmac_f32 v57, 0xbf5db3d7, v119
	v_fmac_f32_e32 v56, 0x3f5db3d7, v117
	ds_store_2addr_b64 v103, v[52:53], v[54:55] offset1:1
	ds_store_b64 v103, v[68:69] offset:16
	ds_store_2addr_b64 v102, v[58:59], v[60:61] offset1:1
	ds_store_b64 v102, v[62:63] offset:16
	;; [unrolled: 2-line block ×3, first 2 shown]
	global_wb scope:SCOPE_SE
	s_wait_dscnt 0x0
	s_barrier_signal -1
	s_barrier_wait -1
	global_inv scope:SCOPE_SE
	s_and_saveexec_b32 s0, vcc_lo
	s_cbranch_execz .LBB0_11
; %bb.10:
	ds_load_2addr_b64 v[56:59], v92 offset0:24 offset1:123
	ds_load_2addr_b64 v[60:63], v71 offset0:140 offset1:239
	;; [unrolled: 1-line block ×3, first 2 shown]
	ds_load_2addr_b64 v[52:55], v98 offset1:99
	ds_load_2addr_b64 v[64:67], v91 offset0:82 offset1:181
	ds_load_b64 v[95:96], v98 offset:7920
	s_wait_dscnt 0x5
	v_dual_mov_b32 v93, v58 :: v_dual_mov_b32 v94, v59
	s_wait_dscnt 0x3
	v_dual_mov_b32 v58, v70 :: v_dual_mov_b32 v59, v71
.LBB0_11:
	s_wait_alu 0xfffe
	s_or_b32 exec_lo, exec_lo, s0
	s_wait_dscnt 0x2
	v_mul_f32_e32 v70, v17, v55
	v_mul_f32_e32 v71, v17, v54
	;; [unrolled: 1-line block ×4, first 2 shown]
	global_wb scope:SCOPE_SE
	s_wait_dscnt 0x0
	v_fmac_f32_e32 v70, v16, v54
	v_dual_mul_f32 v54, v13, v58 :: v_dual_fmac_f32 v17, v18, v68
	v_fma_f32 v68, v18, v69, -v91
	v_mul_f32_e32 v18, v15, v60
	v_fma_f32 v19, v16, v55, -v71
	v_dual_mul_f32 v16, v13, v59 :: v_dual_mul_f32 v13, v15, v61
	v_fma_f32 v15, v12, v59, -v54
	s_delay_alu instid0(VALU_DEP_4) | instskip(NEXT) | instid1(VALU_DEP_3)
	v_fma_f32 v18, v14, v61, -v18
	v_dual_mul_f32 v59, v1, v67 :: v_dual_fmac_f32 v16, v12, v58
	s_delay_alu instid0(VALU_DEP_4) | instskip(SKIP_3) | instid1(VALU_DEP_4)
	v_dual_fmac_f32 v13, v14, v60 :: v_dual_mul_f32 v12, v5, v63
	v_dual_mul_f32 v5, v5, v62 :: v_dual_mul_f32 v14, v7, v65
	v_mul_f32_e32 v7, v7, v64
	v_mul_f32_e32 v1, v1, v66
	v_fmac_f32_e32 v12, v4, v62
	s_delay_alu instid0(VALU_DEP_4) | instskip(SKIP_4) | instid1(VALU_DEP_4)
	v_fma_f32 v58, v4, v63, -v5
	v_mul_f32_e32 v4, v11, v95
	v_fmac_f32_e32 v14, v6, v64
	v_fma_f32 v62, v6, v65, -v7
	v_dual_mul_f32 v6, v11, v96 :: v_dual_fmac_f32 v59, v0, v66
	v_fma_f32 v7, v10, v96, -v4
	v_mul_f32_e32 v11, v3, v57
	v_fma_f32 v64, v0, v67, -v1
	s_delay_alu instid0(VALU_DEP_4) | instskip(NEXT) | instid1(VALU_DEP_4)
	v_dual_fmac_f32 v6, v10, v95 :: v_dual_mul_f32 v1, v9, v93
	v_dual_sub_f32 v101, v19, v7 :: v_dual_mul_f32 v10, v9, v94
	s_delay_alu instid0(VALU_DEP_2) | instskip(SKIP_1) | instid1(VALU_DEP_3)
	v_dual_mul_f32 v4, v3, v56 :: v_dual_sub_f32 v3, v70, v6
	v_add_f32_e32 v0, v6, v70
	v_dual_fmac_f32 v11, v2, v56 :: v_dual_mul_f32 v66, 0xbf0a6770, v101
	v_fma_f32 v63, v8, v94, -v1
	v_fmac_f32_e32 v10, v8, v93
	v_add_f32_e32 v112, v7, v19
	v_fma_f32 v65, v2, v57, -v4
	v_fma_f32 v1, 0x3f575c64, v0, -v66
	v_dual_sub_f32 v108, v68, v63 :: v_dual_add_f32 v117, v63, v68
	v_mul_f32_e32 v96, 0xbf68dda4, v101
	s_delay_alu instid0(VALU_DEP_4) | instskip(NEXT) | instid1(VALU_DEP_4)
	v_sub_f32_e32 v114, v15, v65
	v_add_f32_e32 v4, v52, v1
	v_add_f32_e32 v1, v10, v17
	v_mul_f32_e32 v103, 0x3ed4b147, v112
	v_mul_f32_e32 v69, 0x3f575c64, v112
	;; [unrolled: 1-line block ×3, first 2 shown]
	v_fma_f32 v8, 0x3ed4b147, v0, -v96
	v_mul_f32_e32 v71, 0x3ed4b147, v117
	v_mul_f32_e32 v107, 0xbf4178ce, v108
	v_fmamk_f32 v5, v3, 0xbf0a6770, v69
	v_dual_fmamk_f32 v9, v3, 0xbf68dda4, v103 :: v_dual_sub_f32 v2, v17, v10
	v_fma_f32 v54, 0x3ed4b147, v1, -v67
	v_dual_add_f32 v120, v65, v15 :: v_dual_mul_f32 v111, 0xbf27a4f4, v117
	s_delay_alu instid0(VALU_DEP_4) | instskip(NEXT) | instid1(VALU_DEP_3)
	v_dual_add_f32 v55, v53, v5 :: v_dual_add_f32 v8, v52, v8
	v_dual_add_f32 v54, v54, v4 :: v_dual_add_f32 v9, v53, v9
	v_fmamk_f32 v56, v2, 0xbf68dda4, v71
	v_dual_add_f32 v4, v11, v16 :: v_dual_mul_f32 v91, 0xbf7d64f0, v114
	v_dual_sub_f32 v5, v16, v11 :: v_dual_mul_f32 v92, 0xbe11bafb, v120
	v_fma_f32 v57, 0xbf27a4f4, v1, -v107
	v_dual_mul_f32 v109, 0x3e903f40, v114 :: v_dual_sub_f32 v116, v18, v64
	v_dual_fmamk_f32 v60, v2, 0xbf4178ce, v111 :: v_dual_add_f32 v55, v56, v55
	v_fma_f32 v61, 0xbe11bafb, v4, -v91
	v_dual_fmamk_f32 v56, v5, 0xbf7d64f0, v92 :: v_dual_sub_f32 v119, v58, v62
	s_delay_alu instid0(VALU_DEP_3) | instskip(SKIP_2) | instid1(VALU_DEP_4)
	v_dual_add_f32 v57, v57, v8 :: v_dual_add_f32 v60, v60, v9
	v_dual_mul_f32 v115, 0xbf75a155, v120 :: v_dual_add_f32 v122, v64, v18
	v_dual_add_f32 v8, v59, v13 :: v_dual_mul_f32 v93, 0xbf4178ce, v116
	v_dual_add_f32 v54, v61, v54 :: v_dual_add_f32 v55, v56, v55
	v_fma_f32 v56, 0xbf75a155, v4, -v109
	s_delay_alu instid0(VALU_DEP_4) | instskip(SKIP_2) | instid1(VALU_DEP_4)
	v_dual_sub_f32 v9, v13, v59 :: v_dual_mul_f32 v94, 0xbf27a4f4, v122
	v_mul_f32_e32 v113, 0x3f7d64f0, v116
	v_fma_f32 v95, 0xbf27a4f4, v8, -v93
	v_dual_add_f32 v56, v56, v57 :: v_dual_fmamk_f32 v61, v5, 0x3e903f40, v115
	s_delay_alu instid0(VALU_DEP_4) | instskip(NEXT) | instid1(VALU_DEP_4)
	v_fmamk_f32 v57, v9, 0xbf4178ce, v94
	v_fma_f32 v102, 0xbe11bafb, v8, -v113
	s_delay_alu instid0(VALU_DEP_4) | instskip(NEXT) | instid1(VALU_DEP_4)
	v_add_f32_e32 v54, v95, v54
	v_dual_add_f32 v123, v62, v58 :: v_dual_add_f32 v124, v61, v60
	v_add_f32_e32 v60, v14, v12
	v_dual_mul_f32 v118, 0xbe11bafb, v122 :: v_dual_add_f32 v55, v57, v55
	v_add_f32_e32 v125, v102, v56
	s_delay_alu instid0(VALU_DEP_4) | instskip(NEXT) | instid1(VALU_DEP_3)
	v_dual_sub_f32 v61, v12, v14 :: v_dual_mul_f32 v102, 0xbf75a155, v123
	v_fmamk_f32 v56, v9, 0x3f7d64f0, v118
	v_mul_f32_e32 v95, 0xbe903f40, v119
	s_barrier_signal -1
	s_barrier_wait -1
	global_inv scope:SCOPE_SE
	v_add_f32_e32 v124, v56, v124
	v_fma_f32 v56, 0xbf75a155, v60, -v95
	s_delay_alu instid0(VALU_DEP_1) | instskip(NEXT) | instid1(VALU_DEP_1)
	v_dual_mul_f32 v121, 0x3f575c64, v123 :: v_dual_add_f32 v56, v56, v54
	v_dual_mul_f32 v110, 0x3f0a6770, v119 :: v_dual_fmamk_f32 v127, v61, 0x3f0a6770, v121
	s_delay_alu instid0(VALU_DEP_1) | instskip(NEXT) | instid1(VALU_DEP_1)
	v_fma_f32 v126, 0x3f575c64, v60, -v110
	v_dual_fmamk_f32 v57, v61, 0xbe903f40, v102 :: v_dual_add_f32 v54, v126, v125
	s_delay_alu instid0(VALU_DEP_1) | instskip(NEXT) | instid1(VALU_DEP_4)
	v_add_f32_e32 v57, v57, v55
	v_add_f32_e32 v55, v127, v124
	s_and_saveexec_b32 s0, vcc_lo
	s_cbranch_execz .LBB0_13
; %bb.12:
	v_dual_mul_f32 v135, 0xbf4178ce, v2 :: v_dual_mul_f32 v142, 0xbf4178ce, v9
	v_mul_f32_e32 v150, 0xbe903f40, v101
	v_mul_f32_e32 v138, 0xbf75a155, v112
	v_dual_mul_f32 v152, 0x3f0a6770, v61 :: v_dual_mul_f32 v153, 0x3f0a6770, v108
	s_delay_alu instid0(VALU_DEP_4) | instskip(NEXT) | instid1(VALU_DEP_4)
	v_sub_f32_e32 v111, v111, v135
	v_dual_mul_f32 v139, 0xbf75a155, v4 :: v_dual_fmamk_f32 v126, v0, 0xbf75a155, v150
	v_dual_mul_f32 v128, 0x3f575c64, v0 :: v_dual_mul_f32 v143, 0x3f575c64, v117
	v_mul_f32_e32 v137, 0xbf7d64f0, v5
	v_fmamk_f32 v124, v3, 0x3e903f40, v138
	s_delay_alu instid0(VALU_DEP_4) | instskip(SKIP_1) | instid1(VALU_DEP_3)
	v_dual_add_f32 v126, v52, v126 :: v_dual_fmamk_f32 v127, v1, 0x3f575c64, v153
	v_mul_f32_e32 v129, 0xbf0a6770, v3
	v_dual_fmamk_f32 v125, v2, 0xbf0a6770, v143 :: v_dual_add_f32 v124, v53, v124
	v_mul_f32_e32 v155, 0xbf4178ce, v114
	s_delay_alu instid0(VALU_DEP_4) | instskip(SKIP_1) | instid1(VALU_DEP_3)
	v_dual_add_f32 v126, v127, v126 :: v_dual_mul_f32 v131, 0xbf68dda4, v3
	v_mul_f32_e32 v156, 0xbf27a4f4, v112
	v_dual_add_f32 v124, v125, v124 :: v_dual_fmamk_f32 v127, v4, 0xbf27a4f4, v155
	s_delay_alu instid0(VALU_DEP_3) | instskip(SKIP_2) | instid1(VALU_DEP_3)
	v_dual_mul_f32 v144, 0xbe11bafb, v8 :: v_dual_sub_f32 v103, v103, v131
	v_mul_f32_e32 v147, 0xbf27a4f4, v120
	v_dual_mul_f32 v130, 0x3ed4b147, v0 :: v_dual_mul_f32 v151, 0x3ed4b147, v122
	v_dual_mul_f32 v148, 0xbe903f40, v61 :: v_dual_add_f32 v103, v53, v103
	v_mul_f32_e32 v158, 0xbe11bafb, v117
	s_delay_alu instid0(VALU_DEP_4) | instskip(SKIP_3) | instid1(VALU_DEP_4)
	v_dual_add_f32 v126, v127, v126 :: v_dual_fmamk_f32 v125, v5, 0x3f4178ce, v147
	v_mul_f32_e32 v133, 0xbf68dda4, v2
	v_mul_f32_e32 v112, 0xbe11bafb, v112
	;; [unrolled: 1-line block ×3, first 2 shown]
	v_dual_add_f32 v103, v111, v103 :: v_dual_add_f32 v124, v125, v124
	v_dual_mul_f32 v159, 0xbf7d64f0, v119 :: v_dual_fmamk_f32 v160, v2, 0xbf7d64f0, v158
	v_fmamk_f32 v125, v9, 0xbf68dda4, v151
	v_mul_f32_e32 v145, 0x3f7d64f0, v9
	v_mul_f32_e32 v154, 0xbe11bafb, v123
	;; [unrolled: 1-line block ×3, first 2 shown]
	v_dual_mul_f32 v134, 0xbf27a4f4, v1 :: v_dual_mul_f32 v141, 0xbf27a4f4, v8
	v_add_f32_e32 v124, v125, v124
	v_fmamk_f32 v166, v1, 0xbe11bafb, v165
	v_mul_f32_e32 v157, 0x3f68dda4, v116
	s_delay_alu instid0(VALU_DEP_4) | instskip(SKIP_1) | instid1(VALU_DEP_3)
	v_dual_mul_f32 v162, 0xbf4178ce, v101 :: v_dual_add_f32 v107, v134, v107
	v_dual_mul_f32 v146, 0xbf75a155, v60 :: v_dual_mul_f32 v117, 0xbf75a155, v117
	v_fmamk_f32 v127, v8, 0x3ed4b147, v157
	v_mul_f32_e32 v149, 0x3f575c64, v60
	v_dual_add_f32 v113, v144, v113 :: v_dual_mul_f32 v168, 0xbe903f40, v116
	s_delay_alu instid0(VALU_DEP_4) | instskip(NEXT) | instid1(VALU_DEP_4)
	v_fmamk_f32 v170, v2, 0xbe903f40, v117
	v_dual_add_f32 v126, v127, v126 :: v_dual_fmamk_f32 v127, v60, 0xbe11bafb, v159
	v_fmamk_f32 v125, v61, 0x3f7d64f0, v154
	v_mul_f32_e32 v132, 0x3ed4b147, v1
	v_mul_f32_e32 v167, 0xbf0a6770, v114
	v_mul_f32_e32 v161, 0x3f575c64, v120
	v_add_f32_e32 v96, v130, v96
	v_dual_add_f32 v125, v125, v124 :: v_dual_fmamk_f32 v124, v3, 0x3f4178ce, v156
	v_dual_mul_f32 v120, 0x3ed4b147, v120 :: v_dual_add_f32 v19, v19, v53
	s_delay_alu instid0(VALU_DEP_3) | instskip(SKIP_1) | instid1(VALU_DEP_4)
	v_add_f32_e32 v96, v52, v96
	v_mul_f32_e32 v116, 0xbf0a6770, v116
	v_add_f32_e32 v124, v53, v124
	v_fmac_f32_e32 v156, 0xbf4178ce, v3
	v_fmac_f32_e32 v158, 0x3f7d64f0, v2
	v_add_f32_e32 v96, v107, v96
	v_mul_f32_e32 v171, 0x3e903f40, v108
	v_add_f32_e32 v160, v160, v124
	v_add_f32_e32 v124, v127, v126
	v_dual_fmamk_f32 v126, v0, 0xbf27a4f4, v162 :: v_dual_add_f32 v107, v139, v109
	v_dual_sub_f32 v69, v69, v129 :: v_dual_mul_f32 v114, 0x3f68dda4, v114
	v_add_f32_e32 v19, v68, v19
	s_delay_alu instid0(VALU_DEP_3) | instskip(SKIP_2) | instid1(VALU_DEP_3)
	v_add_f32_e32 v126, v52, v126
	v_dual_add_f32 v68, v52, v70 :: v_dual_sub_f32 v71, v71, v133
	v_add_f32_e32 v70, v149, v110
	v_dual_add_f32 v69, v53, v69 :: v_dual_add_f32 v126, v166, v126
	s_delay_alu instid0(VALU_DEP_3) | instskip(SKIP_1) | instid1(VALU_DEP_3)
	v_dual_fmamk_f32 v166, v4, 0x3f575c64, v167 :: v_dual_add_f32 v17, v17, v68
	v_add_f32_e32 v15, v15, v19
	v_dual_add_f32 v19, v128, v66 :: v_dual_add_f32 v66, v71, v69
	s_delay_alu instid0(VALU_DEP_3) | instskip(SKIP_4) | instid1(VALU_DEP_4)
	v_add_f32_e32 v126, v166, v126
	v_fmamk_f32 v166, v8, 0xbf75a155, v168
	v_fmamk_f32 v163, v5, 0x3f0a6770, v161
	v_add_f32_e32 v15, v18, v15
	v_fmac_f32_e32 v143, 0x3f0a6770, v2
	v_dual_fmac_f32 v151, 0x3f68dda4, v9 :: v_dual_add_f32 v126, v166, v126
	s_delay_alu instid0(VALU_DEP_4) | instskip(SKIP_3) | instid1(VALU_DEP_4)
	v_dual_mul_f32 v140, 0x3e903f40, v5 :: v_dual_add_f32 v127, v163, v160
	v_mul_f32_e32 v163, 0x3ed4b147, v123
	v_mul_f32_e32 v169, 0x3f68dda4, v119
	v_mul_f32_e32 v123, 0xbf27a4f4, v123
	v_dual_sub_f32 v111, v115, v140 :: v_dual_mul_f32 v164, 0xbf75a155, v122
	v_dual_mul_f32 v122, 0x3f575c64, v122 :: v_dual_fmamk_f32 v115, v8, 0x3f575c64, v116
	s_delay_alu instid0(VALU_DEP_2) | instskip(NEXT) | instid1(VALU_DEP_3)
	v_dual_fmamk_f32 v166, v60, 0x3ed4b147, v169 :: v_dual_add_f32 v103, v111, v103
	v_dual_fmamk_f32 v160, v9, 0x3e903f40, v164 :: v_dual_sub_f32 v111, v118, v145
	s_delay_alu instid0(VALU_DEP_2) | instskip(SKIP_1) | instid1(VALU_DEP_3)
	v_dual_fmamk_f32 v131, v61, 0x3f4178ce, v123 :: v_dual_add_f32 v126, v166, v126
	v_mul_f32_e32 v119, 0xbf4178ce, v119
	v_dual_add_f32 v127, v160, v127 :: v_dual_fmamk_f32 v160, v61, 0xbf68dda4, v163
	s_delay_alu instid0(VALU_DEP_4) | instskip(SKIP_2) | instid1(VALU_DEP_4)
	v_add_f32_e32 v103, v111, v103
	v_dual_sub_f32 v111, v121, v152 :: v_dual_fmac_f32 v138, 0xbe903f40, v3
	v_add_f32_e32 v18, v52, v19
	v_dual_add_f32 v127, v160, v127 :: v_dual_fmamk_f32 v160, v3, 0x3f7d64f0, v112
	s_delay_alu instid0(VALU_DEP_3) | instskip(SKIP_2) | instid1(VALU_DEP_4)
	v_add_f32_e32 v111, v111, v103
	v_add_f32_e32 v19, v132, v67
	;; [unrolled: 1-line block ×3, first 2 shown]
	v_dual_fmac_f32 v147, 0xbf4178ce, v5 :: v_dual_add_f32 v160, v53, v160
	v_fmac_f32_e32 v164, 0xbe903f40, v9
	s_delay_alu instid0(VALU_DEP_4) | instskip(SKIP_1) | instid1(VALU_DEP_4)
	v_add_f32_e32 v18, v19, v18
	v_add_f32_e32 v16, v16, v17
	v_dual_sub_f32 v17, v92, v137 :: v_dual_add_f32 v160, v170, v160
	v_fmamk_f32 v170, v5, 0xbf68dda4, v120
	v_mul_f32_e32 v101, 0xbf7d64f0, v101
	s_delay_alu instid0(VALU_DEP_4) | instskip(NEXT) | instid1(VALU_DEP_4)
	v_add_f32_e32 v13, v13, v16
	v_add_f32_e32 v16, v17, v66
	v_sub_f32_e32 v17, v94, v142
	v_add_f32_e32 v108, v170, v160
	v_fmamk_f32 v166, v0, 0xbe11bafb, v101
	v_fmamk_f32 v160, v9, 0x3f0a6770, v122
	;; [unrolled: 1-line block ×3, first 2 shown]
	v_dual_add_f32 v96, v107, v96 :: v_dual_add_f32 v15, v62, v15
	s_delay_alu instid0(VALU_DEP_4) | instskip(NEXT) | instid1(VALU_DEP_4)
	v_add_f32_e32 v166, v52, v166
	v_add_f32_e32 v108, v160, v108
	;; [unrolled: 1-line block ×3, first 2 shown]
	s_delay_alu instid0(VALU_DEP_4) | instskip(NEXT) | instid1(VALU_DEP_4)
	v_dual_add_f32 v96, v113, v96 :: v_dual_add_f32 v13, v136, v91
	v_add_f32_e32 v160, v170, v166
	v_fmamk_f32 v166, v4, 0x3ed4b147, v114
	v_dual_add_f32 v108, v131, v108 :: v_dual_add_f32 v15, v64, v15
	s_delay_alu instid0(VALU_DEP_4) | instskip(SKIP_1) | instid1(VALU_DEP_4)
	v_add_f32_e32 v13, v13, v18
	v_add_f32_e32 v18, v141, v93
	;; [unrolled: 1-line block ×3, first 2 shown]
	s_delay_alu instid0(VALU_DEP_4) | instskip(SKIP_1) | instid1(VALU_DEP_4)
	v_dual_fmac_f32 v120, 0x3f68dda4, v5 :: v_dual_add_f32 v15, v65, v15
	v_fmac_f32_e32 v122, 0xbf0a6770, v9
	v_dual_add_f32 v13, v18, v13 :: v_dual_add_f32 v16, v17, v16
	v_sub_f32_e32 v17, v102, v148
	s_delay_alu instid0(VALU_DEP_4) | instskip(SKIP_1) | instid1(VALU_DEP_3)
	v_dual_add_f32 v110, v70, v96 :: v_dual_add_f32 v15, v63, v15
	v_dual_add_f32 v14, v14, v12 :: v_dual_add_f32 v109, v115, v130
	v_add_f32_e32 v12, v17, v16
	v_add_f32_e32 v16, v146, v95
	s_delay_alu instid0(VALU_DEP_4) | instskip(NEXT) | instid1(VALU_DEP_4)
	v_add_f32_e32 v7, v7, v15
	v_add_f32_e32 v14, v59, v14
	v_fma_f32 v15, 0x3f575c64, v1, -v153
	v_fmac_f32_e32 v112, 0xbf7d64f0, v3
	v_fmamk_f32 v115, v60, 0xbf27a4f4, v119
	s_delay_alu instid0(VALU_DEP_4)
	v_dual_fmac_f32 v161, 0xbf0a6770, v5 :: v_dual_add_f32 v14, v11, v14
	v_add_f32_e32 v11, v16, v13
	v_fma_f32 v13, 0xbf75a155, v0, -v150
	v_fma_f32 v16, 0x3ed4b147, v8, -v157
	;; [unrolled: 1-line block ×3, first 2 shown]
	v_add_f32_e32 v107, v115, v109
	v_fmac_f32_e32 v117, 0x3e903f40, v2
	v_add_f32_e32 v13, v52, v13
	v_fmac_f32_e32 v163, 0x3f68dda4, v61
	v_fmac_f32_e32 v123, 0xbf4178ce, v61
	s_delay_alu instid0(VALU_DEP_3) | instskip(SKIP_3) | instid1(VALU_DEP_2)
	v_add_f32_e32 v13, v15, v13
	v_add_f32_e32 v15, v53, v156
	;; [unrolled: 1-line block ×4, first 2 shown]
	v_dual_add_f32 v15, v158, v15 :: v_dual_add_f32 v14, v143, v17
	s_delay_alu instid0(VALU_DEP_2) | instskip(SKIP_2) | instid1(VALU_DEP_4)
	v_add_f32_e32 v6, v6, v10
	v_fma_f32 v17, 0xbe11bafb, v1, -v165
	v_fma_f32 v1, 0xbf75a155, v1, -v171
	v_dual_add_f32 v15, v161, v15 :: v_dual_add_f32 v10, v147, v14
	v_fma_f32 v14, 0xbf27a4f4, v4, -v155
	s_delay_alu instid0(VALU_DEP_2) | instskip(NEXT) | instid1(VALU_DEP_2)
	v_dual_add_f32 v3, v164, v15 :: v_dual_add_f32 v10, v151, v10
	v_add_f32_e32 v13, v14, v13
	v_fma_f32 v15, 0x3f575c64, v4, -v167
	s_delay_alu instid0(VALU_DEP_2) | instskip(SKIP_1) | instid1(VALU_DEP_1)
	v_add_f32_e32 v13, v16, v13
	v_fma_f32 v16, 0xbe11bafb, v60, -v159
	v_dual_add_f32 v13, v16, v13 :: v_dual_add_f32 v16, v53, v112
	v_fmac_f32_e32 v154, 0xbf7d64f0, v61
	s_delay_alu instid0(VALU_DEP_1) | instskip(SKIP_2) | instid1(VALU_DEP_2)
	v_add_f32_e32 v14, v154, v10
	v_fma_f32 v10, 0xbf27a4f4, v0, -v162
	v_fma_f32 v0, 0xbe11bafb, v0, -v101
	v_add_f32_e32 v10, v52, v10
	s_delay_alu instid0(VALU_DEP_2) | instskip(NEXT) | instid1(VALU_DEP_2)
	v_add_f32_e32 v0, v52, v0
	v_add_f32_e32 v10, v17, v10
	s_delay_alu instid0(VALU_DEP_2) | instskip(SKIP_1) | instid1(VALU_DEP_1)
	v_add_f32_e32 v0, v1, v0
	v_fma_f32 v1, 0x3ed4b147, v4, -v114
	v_add_f32_e32 v0, v1, v0
	v_fma_f32 v1, 0x3f575c64, v8, -v116
	s_delay_alu instid0(VALU_DEP_1) | instskip(SKIP_4) | instid1(VALU_DEP_3)
	v_add_f32_e32 v9, v1, v0
	v_add_f32_e32 v1, v163, v3
	v_dual_add_f32 v2, v15, v10 :: v_dual_add_f32 v15, v117, v16
	v_fma_f32 v10, 0xbf75a155, v8, -v168
	v_mul_u32_u24_e32 v8, 33, v100
	v_add_f32_e32 v4, v120, v15
	s_delay_alu instid0(VALU_DEP_3) | instskip(SKIP_1) | instid1(VALU_DEP_4)
	v_add_f32_e32 v2, v10, v2
	v_fma_f32 v10, 0xbf27a4f4, v60, -v119
	v_add_lshl_u32 v8, v8, v99, 3
	s_delay_alu instid0(VALU_DEP_4) | instskip(NEXT) | instid1(VALU_DEP_4)
	v_add_f32_e32 v4, v122, v4
	v_add_f32_e32 v0, v5, v2
	s_delay_alu instid0(VALU_DEP_2)
	v_dual_add_f32 v2, v10, v9 :: v_dual_add_f32 v3, v123, v4
	ds_store_2addr_b64 v8, v[6:7], v[11:12] offset1:3
	ds_store_2addr_b64 v8, v[110:111], v[107:108] offset0:6 offset1:9
	ds_store_2addr_b64 v8, v[126:127], v[124:125] offset0:12 offset1:15
	;; [unrolled: 1-line block ×4, first 2 shown]
	ds_store_b64 v8, v[56:57] offset:240
.LBB0_13:
	s_wait_alu 0xfffe
	s_or_b32 exec_lo, exec_lo, s0
	global_wb scope:SCOPE_SE
	s_wait_dscnt 0x0
	s_barrier_signal -1
	s_barrier_wait -1
	global_inv scope:SCOPE_SE
	ds_load_b64 v[16:17], v98 offset:7744
	v_add_nc_u32_e32 v52, 0x400, v98
	v_add_nc_u32_e32 v0, 0x1400, v98
	s_wait_dscnt 0x0
	v_dual_mul_f32 v19, v31, v16 :: v_dual_add_nc_u32 v4, 0xc00, v98
	ds_load_2addr_b64 v[8:11], v52 offset0:114 offset1:235
	ds_load_2addr_b64 v[0:3], v0 offset0:86 offset1:207
	;; [unrolled: 1-line block ×3, first 2 shown]
	ds_load_2addr_b64 v[4:7], v98 offset1:121
	v_mul_f32_e32 v18, v31, v17
	global_wb scope:SCOPE_SE
	s_wait_dscnt 0x0
	s_barrier_signal -1
	v_fma_f32 v17, v30, v17, -v19
	s_barrier_wait -1
	global_inv scope:SCOPE_SE
	v_mul_f32_e32 v31, v33, v11
	v_mul_f32_e32 v33, v33, v10
	;; [unrolled: 1-line block ×3, first 2 shown]
	v_dual_mul_f32 v35, v35, v0 :: v_dual_mul_f32 v58, v25, v13
	v_dual_mul_f32 v59, v27, v3 :: v_dual_fmac_f32 v18, v30, v16
	s_delay_alu instid0(VALU_DEP_3)
	v_fmac_f32_e32 v53, v34, v0
	v_fmac_f32_e32 v31, v32, v10
	v_dual_mul_f32 v27, v27, v2 :: v_dual_mul_f32 v60, v29, v15
	v_mul_f32_e32 v25, v25, v12
	v_fma_f32 v10, v32, v11, -v33
	v_fma_f32 v1, v34, v1, -v35
	v_dual_fmac_f32 v59, v26, v2 :: v_dual_add_f32 v2, v4, v31
	v_dual_add_f32 v0, v31, v53 :: v_dual_mul_f32 v29, v29, v14
	v_fmac_f32_e32 v58, v24, v12
	v_fma_f32 v16, v26, v3, -v27
	v_fmac_f32_e32 v60, v28, v14
	v_fma_f32 v11, v24, v13, -v25
	v_sub_f32_e32 v3, v10, v1
	v_fma_f32 v12, -0.5, v0, v4
	v_dual_add_f32 v4, v5, v10 :: v_dual_add_f32 v13, v10, v1
	v_add_f32_e32 v0, v2, v53
	v_sub_f32_e32 v10, v31, v53
	s_delay_alu instid0(VALU_DEP_4) | instskip(NEXT) | instid1(VALU_DEP_4)
	v_fmamk_f32 v2, v3, 0xbf5db3d7, v12
	v_dual_fmac_f32 v12, 0x3f5db3d7, v3 :: v_dual_add_f32 v1, v4, v1
	v_fma_f32 v13, -0.5, v13, v5
	v_add_f32_e32 v5, v6, v58
	v_add_f32_e32 v4, v58, v59
	v_fma_f32 v19, v28, v15, -v29
	v_sub_f32_e32 v15, v11, v16
	v_fmamk_f32 v3, v10, 0x3f5db3d7, v13
	v_dual_fmac_f32 v13, 0xbf5db3d7, v10 :: v_dual_add_f32 v10, v11, v16
	v_fma_f32 v6, -0.5, v4, v6
	v_add_f32_e32 v14, v5, v59
	v_add_f32_e32 v5, v7, v11
	;; [unrolled: 1-line block ×3, first 2 shown]
	v_dual_fmac_f32 v7, -0.5, v10 :: v_dual_sub_f32 v10, v58, v59
	v_fmamk_f32 v4, v15, 0xbf5db3d7, v6
	s_delay_alu instid0(VALU_DEP_4) | instskip(NEXT) | instid1(VALU_DEP_3)
	v_dual_fmac_f32 v6, 0x3f5db3d7, v15 :: v_dual_add_f32 v15, v5, v16
	v_dual_add_f32 v16, v8, v60 :: v_dual_fmamk_f32 v5, v10, 0x3f5db3d7, v7
	v_fma_f32 v8, -0.5, v11, v8
	v_sub_f32_e32 v11, v19, v17
	v_dual_fmac_f32 v7, 0xbf5db3d7, v10 :: v_dual_add_f32 v10, v19, v17
	s_delay_alu instid0(VALU_DEP_4) | instskip(NEXT) | instid1(VALU_DEP_2)
	v_dual_add_f32 v19, v9, v19 :: v_dual_add_f32 v16, v16, v18
	v_fmac_f32_e32 v9, -0.5, v10
	v_sub_f32_e32 v10, v60, v18
	v_fmamk_f32 v18, v11, 0xbf5db3d7, v8
	s_delay_alu instid0(VALU_DEP_4) | instskip(NEXT) | instid1(VALU_DEP_3)
	v_dual_fmac_f32 v8, 0x3f5db3d7, v11 :: v_dual_add_f32 v17, v19, v17
	v_fmamk_f32 v19, v10, 0x3f5db3d7, v9
	v_fmac_f32_e32 v9, 0xbf5db3d7, v10
	ds_store_2addr_b64 v106, v[0:1], v[2:3] offset1:33
	ds_store_b64 v106, v[12:13] offset:528
	ds_store_2addr_b64 v105, v[14:15], v[4:5] offset1:33
	ds_store_b64 v105, v[6:7] offset:528
	;; [unrolled: 2-line block ×3, first 2 shown]
	global_wb scope:SCOPE_SE
	s_wait_dscnt 0x0
	s_barrier_signal -1
	s_barrier_wait -1
	global_inv scope:SCOPE_SE
	s_and_saveexec_b32 s0, vcc_lo
	s_cbranch_execz .LBB0_15
; %bb.14:
	v_add_nc_u32_e32 v0, 0x1800, v98
	v_add_nc_u32_e32 v4, 0x800, v98
	;; [unrolled: 1-line block ×3, first 2 shown]
	ds_load_2addr_b64 v[8:11], v0 offset0:24 offset1:123
	ds_load_2addr_b64 v[0:3], v98 offset1:99
	ds_load_2addr_b64 v[12:15], v52 offset0:70 offset1:169
	ds_load_b64 v[56:57], v98 offset:7920
	ds_load_2addr_b64 v[4:7], v4 offset0:140 offset1:239
	ds_load_2addr_b64 v[16:19], v16 offset0:82 offset1:181
	s_wait_dscnt 0x5
	v_dual_mov_b32 v55, v11 :: v_dual_mov_b32 v54, v10
.LBB0_15:
	s_wait_alu 0xfffe
	s_or_b32 exec_lo, exec_lo, s0
	s_and_saveexec_b32 s0, vcc_lo
	s_cbranch_execz .LBB0_17
; %bb.16:
	s_wait_dscnt 0x2
	v_dual_mul_f32 v10, v51, v56 :: v_dual_mul_f32 v11, v45, v2
	v_dual_mul_f32 v24, v45, v3 :: v_dual_mul_f32 v25, v51, v57
	v_mul_f32_e32 v30, v49, v55
	s_delay_alu instid0(VALU_DEP_3) | instskip(NEXT) | instid1(VALU_DEP_4)
	v_fma_f32 v26, v50, v57, -v10
	v_fma_f32 v11, v44, v3, -v11
	v_dual_mul_f32 v3, v49, v54 :: v_dual_mul_f32 v10, v47, v12
	v_dual_fmac_f32 v24, v44, v2 :: v_dual_fmac_f32 v25, v50, v56
	s_delay_alu instid0(VALU_DEP_3) | instskip(NEXT) | instid1(VALU_DEP_3)
	v_add_f32_e32 v27, v26, v11
	v_fma_f32 v28, v48, v55, -v3
	s_delay_alu instid0(VALU_DEP_4) | instskip(SKIP_1) | instid1(VALU_DEP_4)
	v_fma_f32 v29, v46, v13, -v10
	v_mul_f32_e32 v13, v47, v13
	v_dual_sub_f32 v32, v24, v25 :: v_dual_mul_f32 v31, 0xbf75a155, v27
	v_dual_fmac_f32 v30, v48, v54 :: v_dual_mul_f32 v53, 0xbf27a4f4, v27
	s_delay_alu instid0(VALU_DEP_3) | instskip(SKIP_1) | instid1(VALU_DEP_4)
	v_fmac_f32_e32 v13, v46, v12
	v_add_f32_e32 v33, v28, v29
	v_dual_fmamk_f32 v3, v32, 0x3e903f40, v31 :: v_dual_mul_f32 v10, v39, v8
	v_sub_f32_e32 v48, v29, v28
	s_delay_alu instid0(VALU_DEP_4) | instskip(NEXT) | instid1(VALU_DEP_4)
	v_sub_f32_e32 v2, v13, v30
	v_mul_f32_e32 v34, 0x3f575c64, v33
	v_mul_f32_e32 v12, v41, v14
	v_add_f32_e32 v3, v1, v3
	v_fma_f32 v44, v38, v9, -v10
	s_wait_dscnt 0x1
	v_dual_mul_f32 v10, v43, v4 :: v_dual_fmamk_f32 v35, v2, 0xbf0a6770, v34
	v_fma_f32 v12, v40, v15, -v12
	v_dual_mul_f32 v15, v41, v15 :: v_dual_mul_f32 v100, 0xbf27a4f4, v33
	v_mul_f32_e32 v108, 0xbf4178ce, v48
	v_mul_f32_e32 v66, 0xbe11bafb, v27
	v_fmac_f32_e32 v34, 0x3f0a6770, v2
	s_delay_alu instid0(VALU_DEP_4) | instskip(SKIP_2) | instid1(VALU_DEP_3)
	v_dual_fmac_f32 v15, v40, v14 :: v_dual_mul_f32 v40, v43, v5
	v_dual_mul_f32 v39, v39, v9 :: v_dual_fmamk_f32 v102, v2, 0x3f4178ce, v100
	v_mul_f32_e32 v65, 0x3f7d64f0, v48
	v_fmac_f32_e32 v40, v42, v4
	s_delay_alu instid0(VALU_DEP_3)
	v_dual_fmac_f32 v39, v38, v8 :: v_dual_mul_f32 v8, v21, v6
	v_fma_f32 v38, v42, v5, -v10
	s_wait_dscnt 0x0
	v_mul_f32_e32 v5, v23, v16
	v_sub_f32_e32 v42, v11, v26
	v_sub_f32_e32 v43, v15, v39
	v_mul_f32_e32 v9, v37, v18
	v_mul_f32_e32 v21, v21, v7
	v_fma_f32 v45, v20, v7, -v8
	v_mul_f32_e32 v46, 0xbe903f40, v42
	v_mul_f32_e32 v63, 0xbf4178ce, v42
	v_fma_f32 v14, v36, v19, -v9
	v_dual_mul_f32 v19, v37, v19 :: v_dual_mul_f32 v92, 0xbf7d64f0, v42
	v_dual_mul_f32 v106, 0xbf68dda4, v42 :: v_dual_add_f32 v11, v11, v1
	s_delay_alu instid0(VALU_DEP_3) | instskip(SKIP_1) | instid1(VALU_DEP_4)
	v_add_f32_e32 v9, v14, v38
	v_add_f32_e32 v41, v44, v12
	v_fmac_f32_e32 v19, v36, v18
	v_fma_f32 v36, v22, v17, -v5
	v_mul_f32_e32 v17, v23, v17
	v_mul_f32_e32 v18, 0x3ed4b147, v9
	v_dual_mul_f32 v37, 0xbf27a4f4, v41 :: v_dual_sub_f32 v54, v38, v14
	s_delay_alu instid0(VALU_DEP_4) | instskip(NEXT) | instid1(VALU_DEP_4)
	v_add_f32_e32 v47, v36, v45
	v_fmac_f32_e32 v17, v22, v16
	v_add_f32_e32 v22, v30, v13
	s_delay_alu instid0(VALU_DEP_4) | instskip(SKIP_2) | instid1(VALU_DEP_4)
	v_fmamk_f32 v4, v43, 0x3f4178ce, v37
	v_dual_fmac_f32 v21, v20, v6 :: v_dual_add_f32 v56, v19, v40
	v_mul_f32_e32 v16, 0x3f0a6770, v48
	v_dual_mul_f32 v55, 0xbe11bafb, v33 :: v_dual_fmamk_f32 v8, v22, 0xbe11bafb, v65
	v_dual_sub_f32 v49, v12, v44 :: v_dual_mul_f32 v62, 0xbf75a155, v9
	s_delay_alu instid0(VALU_DEP_4) | instskip(NEXT) | instid1(VALU_DEP_4)
	v_dual_add_f32 v3, v35, v3 :: v_dual_sub_f32 v50, v21, v17
	v_dual_sub_f32 v35, v40, v19 :: v_dual_fmamk_f32 v6, v22, 0x3f575c64, v16
	s_delay_alu instid0(VALU_DEP_2) | instskip(SKIP_1) | instid1(VALU_DEP_3)
	v_dual_mul_f32 v52, 0xbf4178ce, v49 :: v_dual_add_f32 v3, v4, v3
	v_add_f32_e32 v60, v17, v21
	v_fmamk_f32 v4, v35, 0xbf68dda4, v18
	v_add_f32_e32 v51, v39, v15
	v_dual_add_f32 v23, v25, v24 :: v_dual_mul_f32 v20, 0xbe11bafb, v47
	v_dual_sub_f32 v58, v45, v36 :: v_dual_mul_f32 v59, 0x3f575c64, v41
	s_delay_alu instid0(VALU_DEP_4) | instskip(NEXT) | instid1(VALU_DEP_3)
	v_add_f32_e32 v3, v4, v3
	v_fmamk_f32 v5, v23, 0xbf75a155, v46
	s_delay_alu instid0(VALU_DEP_4) | instskip(NEXT) | instid1(VALU_DEP_4)
	v_fmamk_f32 v4, v50, 0x3f7d64f0, v20
	v_mul_f32_e32 v113, 0x3f0a6770, v58
	v_mul_f32_e32 v107, 0x3f575c64, v47
	;; [unrolled: 1-line block ×3, first 2 shown]
	v_add_f32_e32 v5, v0, v5
	v_dual_mul_f32 v91, 0x3f575c64, v9 :: v_dual_add_f32 v4, v4, v3
	v_mul_f32_e32 v64, 0x3ed4b147, v47
	v_mul_f32_e32 v68, 0xbf75a155, v33
	s_delay_alu instid0(VALU_DEP_4) | instskip(NEXT) | instid1(VALU_DEP_4)
	v_dual_add_f32 v5, v6, v5 :: v_dual_fmamk_f32 v6, v51, 0xbf27a4f4, v52
	v_fmamk_f32 v93, v35, 0x3f0a6770, v91
	s_delay_alu instid0(VALU_DEP_3) | instskip(SKIP_1) | instid1(VALU_DEP_4)
	v_dual_mul_f32 v69, 0xbe903f40, v54 :: v_dual_fmamk_f32 v10, v2, 0xbe903f40, v68
	v_mul_f32_e32 v70, 0x3ed4b147, v41
	v_add_f32_e32 v3, v6, v5
	v_fmamk_f32 v5, v32, 0x3f4178ce, v53
	v_fmamk_f32 v6, v2, 0xbf7d64f0, v55
	v_dual_mul_f32 v95, 0x3e903f40, v48 :: v_dual_mul_f32 v110, 0x3e903f40, v49
	v_mul_f32_e32 v99, 0x3f68dda4, v49
	s_delay_alu instid0(VALU_DEP_4) | instskip(SKIP_1) | instid1(VALU_DEP_4)
	v_add_f32_e32 v5, v1, v5
	v_dual_fmamk_f32 v109, v22, 0xbf27a4f4, v108 :: v_dual_add_f32 v24, v0, v24
	v_fmamk_f32 v96, v22, 0xbf75a155, v95
	v_mul_f32_e32 v33, 0x3ed4b147, v33
	s_delay_alu instid0(VALU_DEP_4) | instskip(SKIP_2) | instid1(VALU_DEP_4)
	v_dual_add_f32 v5, v6, v5 :: v_dual_fmamk_f32 v6, v43, 0x3f0a6770, v59
	v_mul_f32_e32 v71, 0x3f68dda4, v58
	v_mul_f32_e32 v67, 0xbf0a6770, v49
	v_fmamk_f32 v112, v2, 0x3f68dda4, v33
	v_mul_f32_e32 v105, 0xbe11bafb, v9
	v_dual_add_f32 v5, v6, v5 :: v_dual_fmamk_f32 v6, v35, 0x3e903f40, v62
	v_mul_f32_e32 v61, 0xbf7d64f0, v58
	v_mul_f32_e32 v94, 0xbf27a4f4, v47
	;; [unrolled: 1-line block ×3, first 2 shown]
	s_delay_alu instid0(VALU_DEP_4) | instskip(SKIP_4) | instid1(VALU_DEP_4)
	v_dual_mul_f32 v104, 0xbf4178ce, v58 :: v_dual_add_f32 v5, v6, v5
	v_fmamk_f32 v6, v50, 0xbf68dda4, v64
	v_mul_f32_e32 v41, 0xbe11bafb, v41
	v_mul_f32_e32 v111, 0x3f7d64f0, v54
	v_dual_mul_f32 v114, 0xbf27a4f4, v9 :: v_dual_add_f32 v11, v29, v11
	v_dual_add_f32 v6, v6, v5 :: v_dual_fmamk_f32 v5, v32, 0x3f7d64f0, v66
	v_mul_f32_e32 v48, 0xbf68dda4, v48
	v_fma_f32 v16, 0x3f575c64, v22, -v16
	s_delay_alu instid0(VALU_DEP_4) | instskip(NEXT) | instid1(VALU_DEP_4)
	v_dual_add_f32 v11, v12, v11 :: v_dual_add_f32 v12, v13, v24
	v_dual_add_f32 v5, v1, v5 :: v_dual_mul_f32 v24, 0xbf75a155, v47
	v_fmac_f32_e32 v55, 0x3f7d64f0, v2
	s_delay_alu instid0(VALU_DEP_3) | instskip(NEXT) | instid1(VALU_DEP_3)
	v_dual_add_f32 v11, v38, v11 :: v_dual_add_f32 v12, v15, v12
	v_dual_add_f32 v5, v10, v5 :: v_dual_fmamk_f32 v10, v43, 0xbf68dda4, v70
	v_mul_f32_e32 v57, 0x3f68dda4, v54
	v_fmamk_f32 v15, v50, 0x3e903f40, v24
	v_fmac_f32_e32 v33, 0xbf68dda4, v2
	s_delay_alu instid0(VALU_DEP_4) | instskip(NEXT) | instid1(VALU_DEP_4)
	v_dual_fmac_f32 v37, 0xbf4178ce, v43 :: v_dual_add_f32 v10, v10, v5
	v_fmamk_f32 v7, v56, 0x3ed4b147, v57
	v_fmac_f32_e32 v53, 0xbf4178ce, v32
	v_dual_add_f32 v40, v40, v12 :: v_dual_add_f32 v11, v45, v11
	s_delay_alu instid0(VALU_DEP_3) | instskip(SKIP_1) | instid1(VALU_DEP_3)
	v_dual_fmac_f32 v20, 0xbf7d64f0, v50 :: v_dual_add_f32 v3, v7, v3
	v_fmamk_f32 v7, v60, 0xbe11bafb, v61
	v_dual_fmac_f32 v66, 0xbf7d64f0, v32 :: v_dual_add_f32 v11, v36, v11
	v_fmac_f32_e32 v64, 0x3f68dda4, v50
	v_fmac_f32_e32 v31, 0xbe903f40, v32
	s_delay_alu instid0(VALU_DEP_4) | instskip(SKIP_4) | instid1(VALU_DEP_4)
	v_add_f32_e32 v3, v7, v3
	v_fmamk_f32 v7, v23, 0xbf27a4f4, v63
	v_dual_add_f32 v11, v14, v11 :: v_dual_mul_f32 v38, 0xbf7d64f0, v49
	v_fmac_f32_e32 v62, 0xbe903f40, v35
	v_fmac_f32_e32 v18, 0x3f68dda4, v35
	v_dual_add_f32 v7, v0, v7 :: v_dual_fmac_f32 v24, 0xbe903f40, v50
	s_delay_alu instid0(VALU_DEP_4) | instskip(NEXT) | instid1(VALU_DEP_2)
	v_fmamk_f32 v45, v51, 0xbe11bafb, v38
	v_dual_add_f32 v7, v8, v7 :: v_dual_fmamk_f32 v8, v51, 0x3f575c64, v67
	v_fmac_f32_e32 v68, 0x3e903f40, v2
	v_fmac_f32_e32 v59, 0xbf0a6770, v43
	s_delay_alu instid0(VALU_DEP_3) | instskip(SKIP_2) | instid1(VALU_DEP_2)
	v_add_f32_e32 v7, v8, v7
	v_fmamk_f32 v8, v56, 0xbf75a155, v69
	v_fmac_f32_e32 v70, 0x3f68dda4, v43
	v_add_f32_e32 v7, v8, v7
	v_fmamk_f32 v8, v60, 0x3ed4b147, v71
	s_delay_alu instid0(VALU_DEP_1) | instskip(SKIP_4) | instid1(VALU_DEP_4)
	v_add_f32_e32 v5, v8, v7
	v_dual_fmamk_f32 v7, v23, 0xbe11bafb, v92 :: v_dual_add_f32 v8, v93, v10
	v_fmamk_f32 v10, v50, 0x3f4178ce, v94
	v_mul_f32_e32 v93, 0x3ed4b147, v27
	v_mul_f32_e32 v27, 0x3f575c64, v27
	v_dual_add_f32 v7, v0, v7 :: v_dual_fmac_f32 v94, 0xbf4178ce, v50
	s_delay_alu instid0(VALU_DEP_1) | instskip(SKIP_3) | instid1(VALU_DEP_3)
	v_dual_add_f32 v8, v10, v8 :: v_dual_add_f32 v7, v96, v7
	v_fmamk_f32 v96, v51, 0x3ed4b147, v99
	v_fmac_f32_e32 v100, 0xbf4178ce, v2
	v_fma_f32 v2, 0x3ed4b147, v22, -v48
	v_add_f32_e32 v7, v96, v7
	v_fmamk_f32 v96, v56, 0x3f575c64, v101
	v_fmac_f32_e32 v91, 0xbf0a6770, v35
	s_delay_alu instid0(VALU_DEP_2) | instskip(SKIP_1) | instid1(VALU_DEP_1)
	v_add_f32_e32 v7, v96, v7
	v_fmamk_f32 v96, v60, 0xbf27a4f4, v104
	v_dual_add_f32 v7, v96, v7 :: v_dual_fmamk_f32 v96, v23, 0x3ed4b147, v106
	v_fmamk_f32 v10, v32, 0x3f68dda4, v93
	v_fmac_f32_e32 v93, 0xbf68dda4, v32
	s_delay_alu instid0(VALU_DEP_3) | instskip(NEXT) | instid1(VALU_DEP_3)
	v_add_f32_e32 v96, v0, v96
	v_add_f32_e32 v10, v1, v10
	s_delay_alu instid0(VALU_DEP_2) | instskip(NEXT) | instid1(VALU_DEP_2)
	v_dual_add_f32 v96, v109, v96 :: v_dual_fmamk_f32 v109, v51, 0xbf75a155, v110
	v_add_f32_e32 v10, v102, v10
	s_delay_alu instid0(VALU_DEP_2) | instskip(SKIP_2) | instid1(VALU_DEP_2)
	v_add_f32_e32 v96, v109, v96
	v_fmamk_f32 v102, v43, 0xbe903f40, v103
	v_fmamk_f32 v109, v56, 0xbe11bafb, v111
	v_dual_fmac_f32 v103, 0x3e903f40, v43 :: v_dual_add_f32 v10, v102, v10
	s_delay_alu instid0(VALU_DEP_2) | instskip(SKIP_3) | instid1(VALU_DEP_4)
	v_dual_fmamk_f32 v102, v35, 0xbf7d64f0, v105 :: v_dual_add_f32 v9, v109, v96
	v_fmamk_f32 v96, v60, 0x3f575c64, v113
	v_fmamk_f32 v109, v35, 0x3f4178ce, v114
	v_mul_f32_e32 v42, 0xbf0a6770, v42
	v_add_f32_e32 v10, v102, v10
	s_delay_alu instid0(VALU_DEP_4) | instskip(SKIP_1) | instid1(VALU_DEP_4)
	v_dual_fmamk_f32 v102, v50, 0xbf0a6770, v107 :: v_dual_add_f32 v9, v96, v9
	v_fmac_f32_e32 v114, 0xbf4178ce, v35
	v_fmamk_f32 v96, v23, 0x3f575c64, v42
	v_fmac_f32_e32 v107, 0x3f0a6770, v50
	s_delay_alu instid0(VALU_DEP_4) | instskip(SKIP_1) | instid1(VALU_DEP_1)
	v_add_f32_e32 v10, v102, v10
	v_fmamk_f32 v102, v32, 0x3f0a6770, v27
	v_dual_add_f32 v13, v0, v96 :: v_dual_add_f32 v102, v1, v102
	s_delay_alu instid0(VALU_DEP_1) | instskip(SKIP_2) | instid1(VALU_DEP_2)
	v_add_f32_e32 v102, v112, v102
	v_fmamk_f32 v112, v43, 0x3f7d64f0, v41
	v_fmac_f32_e32 v41, 0xbf7d64f0, v43
	v_dual_fmac_f32 v105, 0x3f7d64f0, v35 :: v_dual_add_f32 v102, v112, v102
	v_fmac_f32_e32 v27, 0xbf0a6770, v32
	s_delay_alu instid0(VALU_DEP_2) | instskip(NEXT) | instid1(VALU_DEP_1)
	v_add_f32_e32 v29, v109, v102
	v_dual_add_f32 v12, v15, v29 :: v_dual_add_f32 v15, v21, v40
	s_delay_alu instid0(VALU_DEP_1) | instskip(NEXT) | instid1(VALU_DEP_1)
	v_dual_add_f32 v14, v17, v15 :: v_dual_fmamk_f32 v47, v22, 0x3ed4b147, v48
	v_dual_add_f32 v17, v44, v11 :: v_dual_add_f32 v14, v19, v14
	s_delay_alu instid0(VALU_DEP_2) | instskip(SKIP_1) | instid1(VALU_DEP_2)
	v_add_f32_e32 v13, v47, v13
	v_mul_f32_e32 v47, 0xbf4178ce, v54
	v_add_f32_e32 v13, v45, v13
	s_delay_alu instid0(VALU_DEP_2) | instskip(NEXT) | instid1(VALU_DEP_1)
	v_fmamk_f32 v21, v56, 0xbf27a4f4, v47
	v_add_f32_e32 v13, v21, v13
	v_fma_f32 v21, 0xbe11bafb, v22, -v65
	v_mul_f32_e32 v29, 0xbe903f40, v58
	s_delay_alu instid0(VALU_DEP_1) | instskip(NEXT) | instid1(VALU_DEP_1)
	v_fmamk_f32 v15, v60, 0xbf75a155, v29
	v_add_f32_e32 v11, v15, v13
	v_fma_f32 v13, 0xbf75a155, v23, -v46
	v_add_f32_e32 v15, v28, v17
	v_add_f32_e32 v17, v39, v14
	v_fma_f32 v28, 0x3f575c64, v56, -v101
	s_delay_alu instid0(VALU_DEP_3) | instskip(NEXT) | instid1(VALU_DEP_3)
	v_dual_add_f32 v13, v0, v13 :: v_dual_add_f32 v14, v26, v15
	v_add_f32_e32 v15, v30, v17
	v_fma_f32 v26, 0x3ed4b147, v60, -v71
	s_delay_alu instid0(VALU_DEP_2) | instskip(SKIP_2) | instid1(VALU_DEP_1)
	v_dual_add_f32 v16, v16, v13 :: v_dual_add_f32 v13, v25, v15
	v_fma_f32 v25, 0xbe11bafb, v23, -v92
	v_add_f32_e32 v19, v1, v31
	v_add_f32_e32 v19, v34, v19
	s_delay_alu instid0(VALU_DEP_1) | instskip(SKIP_1) | instid1(VALU_DEP_2)
	v_add_f32_e32 v17, v37, v19
	v_fma_f32 v19, 0xbf27a4f4, v51, -v52
	v_add_f32_e32 v15, v18, v17
	s_delay_alu instid0(VALU_DEP_2) | instskip(SKIP_1) | instid1(VALU_DEP_3)
	v_add_f32_e32 v17, v19, v16
	v_fma_f32 v18, 0x3ed4b147, v56, -v57
	v_dual_add_f32 v19, v1, v53 :: v_dual_add_f32 v16, v20, v15
	v_fma_f32 v15, 0xbf27a4f4, v23, -v63
	s_delay_alu instid0(VALU_DEP_3) | instskip(SKIP_1) | instid1(VALU_DEP_4)
	v_add_f32_e32 v17, v18, v17
	v_fma_f32 v18, 0xbe11bafb, v60, -v61
	v_add_f32_e32 v19, v55, v19
	s_delay_alu instid0(VALU_DEP_2) | instskip(NEXT) | instid1(VALU_DEP_2)
	v_dual_add_f32 v20, v0, v15 :: v_dual_add_f32 v15, v18, v17
	v_add_f32_e32 v17, v59, v19
	v_fma_f32 v19, 0x3f575c64, v51, -v67
	s_delay_alu instid0(VALU_DEP_3) | instskip(SKIP_3) | instid1(VALU_DEP_3)
	v_add_f32_e32 v18, v21, v20
	v_add_f32_e32 v20, v1, v66
	v_fma_f32 v21, 0xbf75a155, v56, -v69
	v_add_f32_e32 v17, v62, v17
	v_dual_add_f32 v19, v19, v18 :: v_dual_add_f32 v20, v68, v20
	s_delay_alu instid0(VALU_DEP_1) | instskip(NEXT) | instid1(VALU_DEP_2)
	v_dual_add_f32 v18, v64, v17 :: v_dual_add_f32 v17, v21, v19
	v_dual_add_f32 v19, v70, v20 :: v_dual_add_f32 v20, v0, v25
	v_fma_f32 v21, 0xbf75a155, v22, -v95
	v_add_f32_e32 v25, v1, v93
	s_delay_alu instid0(VALU_DEP_4) | instskip(SKIP_4) | instid1(VALU_DEP_4)
	v_add_f32_e32 v17, v26, v17
	v_fma_f32 v26, 0x3ed4b147, v23, -v106
	v_fma_f32 v23, 0x3f575c64, v23, -v42
	v_add_f32_e32 v20, v21, v20
	v_fma_f32 v21, 0x3ed4b147, v51, -v99
	v_dual_add_f32 v19, v91, v19 :: v_dual_add_f32 v26, v0, v26
	s_delay_alu instid0(VALU_DEP_4) | instskip(SKIP_1) | instid1(VALU_DEP_3)
	v_add_f32_e32 v0, v0, v23
	v_add_f32_e32 v1, v1, v27
	v_dual_add_f32 v21, v21, v20 :: v_dual_add_f32 v20, v94, v19
	v_fma_f32 v23, 0xbf75a155, v51, -v110
	s_delay_alu instid0(VALU_DEP_4) | instskip(SKIP_1) | instid1(VALU_DEP_4)
	v_add_f32_e32 v0, v2, v0
	v_fma_f32 v2, 0xbe11bafb, v51, -v38
	v_add_f32_e32 v19, v28, v21
	v_fma_f32 v28, 0xbf27a4f4, v22, -v108
	v_add_f32_e32 v1, v33, v1
	s_delay_alu instid0(VALU_DEP_4) | instskip(SKIP_1) | instid1(VALU_DEP_3)
	v_dual_add_f32 v25, v100, v25 :: v_dual_add_f32 v0, v2, v0
	v_fma_f32 v2, 0xbf27a4f4, v56, -v47
	v_dual_add_f32 v22, v28, v26 :: v_dual_add_f32 v1, v41, v1
	s_delay_alu instid0(VALU_DEP_3) | instskip(SKIP_1) | instid1(VALU_DEP_4)
	v_add_f32_e32 v25, v103, v25
	v_fma_f32 v21, 0xbf27a4f4, v60, -v104
	v_add_f32_e32 v2, v2, v0
	s_delay_alu instid0(VALU_DEP_4) | instskip(SKIP_4) | instid1(VALU_DEP_4)
	v_add_f32_e32 v22, v23, v22
	v_fma_f32 v23, 0xbe11bafb, v56, -v111
	v_fma_f32 v27, 0xbf75a155, v60, -v29
	v_add_f32_e32 v26, v114, v1
	v_add_f32_e32 v25, v105, v25
	v_dual_add_f32 v19, v21, v19 :: v_dual_add_f32 v22, v23, v22
	v_fma_f32 v23, 0x3f575c64, v60, -v113
	v_add_f32_e32 v21, v27, v2
	s_delay_alu instid0(VALU_DEP_4) | instskip(SKIP_1) | instid1(VALU_DEP_4)
	v_dual_add_f32 v1, v107, v25 :: v_dual_add_nc_u32 v2, 0x400, v98
	v_add_nc_u32_e32 v25, 0x1800, v98
	v_add_f32_e32 v0, v23, v22
	v_add_nc_u32_e32 v23, 0x800, v98
	v_add_f32_e32 v22, v24, v26
	v_add_nc_u32_e32 v24, 0x1000, v98
	ds_store_2addr_b64 v98, v[13:14], v[11:12] offset1:99
	ds_store_2addr_b64 v2, v[9:10], v[7:8] offset0:70 offset1:169
	ds_store_2addr_b64 v23, v[5:6], v[3:4] offset0:140 offset1:239
	;; [unrolled: 1-line block ×4, first 2 shown]
	ds_store_b64 v98, v[21:22] offset:7920
.LBB0_17:
	s_wait_alu 0xfffe
	s_or_b32 exec_lo, exec_lo, s0
	global_wb scope:SCOPE_SE
	s_wait_dscnt 0x0
	s_barrier_signal -1
	s_barrier_wait -1
	global_inv scope:SCOPE_SE
	ds_load_2addr_b64 v[0:3], v98 offset1:121
	v_add_nc_u32_e32 v4, 0x400, v98
	v_add_nc_u32_e32 v8, 0x1400, v98
	v_mad_co_u64_u32 v[16:17], null, s6, v72, 0
	v_mad_co_u64_u32 v[18:19], null, s4, v97, 0
	s_mov_b32 s0, 0xa3611655
	s_mov_b32 s1, 0x3f4e1709
	s_delay_alu instid0(VALU_DEP_1) | instskip(NEXT) | instid1(VALU_DEP_2)
	v_mad_co_u64_u32 v[40:41], null, s7, v72, v[17:18]
	v_mov_b32_e32 v17, v19
	s_wait_dscnt 0x0
	v_mul_f32_e32 v21, v86, v0
	ds_load_2addr_b64 v[4:7], v4 offset0:114 offset1:235
	ds_load_2addr_b64 v[8:11], v8 offset0:86 offset1:207
	v_add_nc_u32_e32 v12, 0xc00, v98
	v_mul_f32_e32 v20, v86, v1
	v_mul_f32_e32 v22, v90, v2
	v_fma_f32 v21, v85, v1, -v21
	v_mad_co_u64_u32 v[41:42], null, s5, v97, v[17:18]
	v_mov_b32_e32 v17, v40
	s_delay_alu instid0(VALU_DEP_4) | instskip(NEXT) | instid1(VALU_DEP_2)
	v_fma_f32 v28, v89, v3, -v22
	v_lshlrev_b64_e32 v[16:17], 3, v[16:17]
	s_delay_alu instid0(VALU_DEP_2) | instskip(SKIP_1) | instid1(VALU_DEP_3)
	v_cvt_f64_f32_e32 v[28:29], v28
	v_mov_b32_e32 v19, v41
	v_add_co_u32 v40, vcc_lo, s2, v16
	s_wait_dscnt 0x0
	v_mul_f32_e32 v27, v88, v8
	ds_load_2addr_b64 v[12:15], v12 offset0:100 offset1:221
	v_dual_mul_f32 v25, v84, v6 :: v_dual_fmac_f32 v20, v85, v0
	v_mul_f32_e32 v33, v76, v10
	v_mul_f32_e32 v26, v88, v9
	;; [unrolled: 1-line block ×4, first 2 shown]
	v_cvt_f64_f32_e32 v[0:1], v20
	v_fma_f32 v20, v83, v7, -v25
	v_fma_f32 v22, v87, v9, -v27
	v_fmac_f32_e32 v23, v83, v6
	v_fmac_f32_e32 v24, v89, v2
	v_cvt_f64_f32_e32 v[2:3], v21
	s_mul_i32 s2, s5, 0xffffed18
	v_fma_f32 v33, v75, v11, -v33
	s_wait_alu 0xfffe
	s_sub_co_i32 s2, s2, s4
	v_mul_f32_e32 v34, v74, v5
	v_cvt_f64_f32_e32 v[6:7], v23
	v_cvt_f64_f32_e32 v[22:23], v22
	v_cvt_f64_f32_e32 v[24:25], v24
	s_wait_dscnt 0x0
	v_mul_f32_e32 v31, v78, v12
	v_dual_fmac_f32 v26, v87, v8 :: v_dual_mul_f32 v37, v80, v14
	v_cvt_f64_f32_e32 v[8:9], v20
	v_mul_f32_e32 v30, v78, v13
	v_fmac_f32_e32 v34, v73, v4
	s_delay_alu instid0(VALU_DEP_4)
	v_cvt_f64_f32_e32 v[20:21], v26
	ds_load_b64 v[26:27], v98 offset:7744
	v_mul_f32_e32 v32, v76, v11
	v_mul_f32_e32 v4, v74, v4
	;; [unrolled: 1-line block ×3, first 2 shown]
	v_fmac_f32_e32 v30, v77, v12
	v_fma_f32 v12, v77, v13, -v31
	v_fma_f32 v37, v79, v15, -v37
	;; [unrolled: 1-line block ×3, first 2 shown]
	v_fmac_f32_e32 v36, v79, v14
	v_cvt_f64_f32_e32 v[34:35], v34
	v_cvt_f64_f32_e32 v[12:13], v12
	s_wait_alu 0xfffd
	v_add_co_ci_u32_e32 v41, vcc_lo, s3, v17, vcc_lo
	v_cvt_f64_f32_e32 v[4:5], v4
	v_cvt_f64_f32_e32 v[14:15], v36
	v_mul_f64_e32 v[16:17], s[0:1], v[28:29]
	v_lshlrev_b64_e32 v[18:19], 3, v[18:19]
	v_mul_f64_e32 v[0:1], s[0:1], v[0:1]
	s_wait_dscnt 0x0
	v_mul_f32_e32 v38, v82, v27
	v_mul_f32_e32 v39, v82, v26
	v_fmac_f32_e32 v32, v75, v10
	v_cvt_f64_f32_e32 v[10:11], v30
	v_mul_f64_e32 v[2:3], s[0:1], v[2:3]
	v_fmac_f32_e32 v38, v81, v26
	v_fma_f32 v39, v81, v27, -v39
	v_cvt_f64_f32_e32 v[30:31], v32
	v_cvt_f64_f32_e32 v[32:33], v33
	;; [unrolled: 1-line block ×5, first 2 shown]
	v_mul_f64_e32 v[6:7], s[0:1], v[6:7]
	v_mul_f64_e32 v[22:23], s[0:1], v[22:23]
	;; [unrolled: 1-line block ×4, first 2 shown]
	v_add_co_u32 v18, vcc_lo, v40, v18
	v_mul_f64_e32 v[20:21], s[0:1], v[20:21]
	s_wait_alu 0xfffd
	v_add_co_ci_u32_e32 v19, vcc_lo, v41, v19, vcc_lo
	v_mul_f64_e32 v[12:13], s[0:1], v[12:13]
	v_mul_f64_e32 v[4:5], s[0:1], v[4:5]
	;; [unrolled: 1-line block ×3, first 2 shown]
	v_cvt_f32_f64_e32 v0, v[0:1]
	v_mul_f64_e32 v[10:11], s[0:1], v[10:11]
	v_cvt_f32_f64_e32 v1, v[2:3]
	v_mul_f64_e32 v[28:29], s[0:1], v[30:31]
	v_mul_f64_e32 v[30:31], s[0:1], v[32:33]
	;; [unrolled: 1-line block ×6, first 2 shown]
	s_mul_u64 s[0:1], s[4:5], 0xb58
	v_cvt_f32_f64_e32 v2, v[6:7]
	s_wait_alu 0xfffe
	v_add_co_u32 v38, vcc_lo, v18, s0
	s_wait_alu 0xfffd
	v_add_co_ci_u32_e32 v39, vcc_lo, s1, v19, vcc_lo
	v_cvt_f32_f64_e32 v3, v[8:9]
	s_delay_alu instid0(VALU_DEP_3) | instskip(SKIP_1) | instid1(VALU_DEP_3)
	v_add_co_u32 v40, vcc_lo, v38, s0
	s_wait_alu 0xfffd
	v_add_co_ci_u32_e32 v41, vcc_lo, s1, v39, vcc_lo
	v_cvt_f32_f64_e32 v8, v[20:21]
	v_cvt_f32_f64_e32 v9, v[22:23]
	v_cvt_f32_f64_e32 v20, v[24:25]
	s_delay_alu instid0(VALU_DEP_4)
	v_mad_co_u64_u32 v[6:7], null, 0xffffed18, s4, v[40:41]
	v_cvt_f32_f64_e32 v21, v[16:17]
	s_clause 0x1
	global_store_b64 v[18:19], v[0:1], off
	global_store_b64 v[38:39], v[2:3], off
	v_cvt_f32_f64_e32 v10, v[10:11]
	v_cvt_f32_f64_e32 v11, v[12:13]
	;; [unrolled: 1-line block ×8, first 2 shown]
	v_add_nc_u32_e32 v7, s2, v7
	v_cvt_f32_f64_e32 v14, v[34:35]
	v_cvt_f32_f64_e32 v15, v[36:37]
	v_add_co_u32 v22, vcc_lo, v6, s0
	s_wait_alu 0xfffd
	v_add_co_ci_u32_e32 v23, vcc_lo, s1, v7, vcc_lo
	global_store_b64 v[40:41], v[8:9], off
	v_add_co_u32 v24, vcc_lo, v22, s0
	s_wait_alu 0xfffd
	v_add_co_ci_u32_e32 v25, vcc_lo, s1, v23, vcc_lo
	global_store_b64 v[6:7], v[20:21], off
	v_mad_co_u64_u32 v[26:27], null, 0xffffed18, s4, v[24:25]
	s_delay_alu instid0(VALU_DEP_1) | instskip(NEXT) | instid1(VALU_DEP_2)
	v_add_nc_u32_e32 v27, s2, v27
	v_add_co_u32 v0, vcc_lo, v26, s0
	s_wait_alu 0xfffd
	s_delay_alu instid0(VALU_DEP_2) | instskip(NEXT) | instid1(VALU_DEP_2)
	v_add_co_ci_u32_e32 v1, vcc_lo, s1, v27, vcc_lo
	v_add_co_u32 v2, vcc_lo, v0, s0
	s_wait_alu 0xfffd
	s_delay_alu instid0(VALU_DEP_2)
	v_add_co_ci_u32_e32 v3, vcc_lo, s1, v1, vcc_lo
	global_store_b64 v[22:23], v[10:11], off
	global_store_b64 v[24:25], v[12:13], off
	global_store_b64 v[26:27], v[16:17], off
	global_store_b64 v[0:1], v[4:5], off
	global_store_b64 v[2:3], v[14:15], off
.LBB0_18:
	s_nop 0
	s_sendmsg sendmsg(MSG_DEALLOC_VGPRS)
	s_endpgm
	.section	.rodata,"a",@progbits
	.p2align	6, 0x0
	.amdhsa_kernel bluestein_single_back_len1089_dim1_sp_op_CI_CI
		.amdhsa_group_segment_fixed_size 8712
		.amdhsa_private_segment_fixed_size 0
		.amdhsa_kernarg_size 104
		.amdhsa_user_sgpr_count 2
		.amdhsa_user_sgpr_dispatch_ptr 0
		.amdhsa_user_sgpr_queue_ptr 0
		.amdhsa_user_sgpr_kernarg_segment_ptr 1
		.amdhsa_user_sgpr_dispatch_id 0
		.amdhsa_user_sgpr_private_segment_size 0
		.amdhsa_wavefront_size32 1
		.amdhsa_uses_dynamic_stack 0
		.amdhsa_enable_private_segment 0
		.amdhsa_system_sgpr_workgroup_id_x 1
		.amdhsa_system_sgpr_workgroup_id_y 0
		.amdhsa_system_sgpr_workgroup_id_z 0
		.amdhsa_system_sgpr_workgroup_info 0
		.amdhsa_system_vgpr_workitem_id 0
		.amdhsa_next_free_vgpr 198
		.amdhsa_next_free_sgpr 16
		.amdhsa_reserve_vcc 1
		.amdhsa_float_round_mode_32 0
		.amdhsa_float_round_mode_16_64 0
		.amdhsa_float_denorm_mode_32 3
		.amdhsa_float_denorm_mode_16_64 3
		.amdhsa_fp16_overflow 0
		.amdhsa_workgroup_processor_mode 1
		.amdhsa_memory_ordered 1
		.amdhsa_forward_progress 0
		.amdhsa_round_robin_scheduling 0
		.amdhsa_exception_fp_ieee_invalid_op 0
		.amdhsa_exception_fp_denorm_src 0
		.amdhsa_exception_fp_ieee_div_zero 0
		.amdhsa_exception_fp_ieee_overflow 0
		.amdhsa_exception_fp_ieee_underflow 0
		.amdhsa_exception_fp_ieee_inexact 0
		.amdhsa_exception_int_div_zero 0
	.end_amdhsa_kernel
	.text
.Lfunc_end0:
	.size	bluestein_single_back_len1089_dim1_sp_op_CI_CI, .Lfunc_end0-bluestein_single_back_len1089_dim1_sp_op_CI_CI
                                        ; -- End function
	.section	.AMDGPU.csdata,"",@progbits
; Kernel info:
; codeLenInByte = 15140
; NumSgprs: 18
; NumVgprs: 198
; ScratchSize: 0
; MemoryBound: 0
; FloatMode: 240
; IeeeMode: 1
; LDSByteSize: 8712 bytes/workgroup (compile time only)
; SGPRBlocks: 2
; VGPRBlocks: 24
; NumSGPRsForWavesPerEU: 18
; NumVGPRsForWavesPerEU: 198
; Occupancy: 7
; WaveLimiterHint : 1
; COMPUTE_PGM_RSRC2:SCRATCH_EN: 0
; COMPUTE_PGM_RSRC2:USER_SGPR: 2
; COMPUTE_PGM_RSRC2:TRAP_HANDLER: 0
; COMPUTE_PGM_RSRC2:TGID_X_EN: 1
; COMPUTE_PGM_RSRC2:TGID_Y_EN: 0
; COMPUTE_PGM_RSRC2:TGID_Z_EN: 0
; COMPUTE_PGM_RSRC2:TIDIG_COMP_CNT: 0
	.text
	.p2alignl 7, 3214868480
	.fill 96, 4, 3214868480
	.type	__hip_cuid_6fb1d1b74e2cd5a7,@object ; @__hip_cuid_6fb1d1b74e2cd5a7
	.section	.bss,"aw",@nobits
	.globl	__hip_cuid_6fb1d1b74e2cd5a7
__hip_cuid_6fb1d1b74e2cd5a7:
	.byte	0                               ; 0x0
	.size	__hip_cuid_6fb1d1b74e2cd5a7, 1

	.ident	"AMD clang version 19.0.0git (https://github.com/RadeonOpenCompute/llvm-project roc-6.4.0 25133 c7fe45cf4b819c5991fe208aaa96edf142730f1d)"
	.section	".note.GNU-stack","",@progbits
	.addrsig
	.addrsig_sym __hip_cuid_6fb1d1b74e2cd5a7
	.amdgpu_metadata
---
amdhsa.kernels:
  - .args:
      - .actual_access:  read_only
        .address_space:  global
        .offset:         0
        .size:           8
        .value_kind:     global_buffer
      - .actual_access:  read_only
        .address_space:  global
        .offset:         8
        .size:           8
        .value_kind:     global_buffer
      - .actual_access:  read_only
        .address_space:  global
        .offset:         16
        .size:           8
        .value_kind:     global_buffer
      - .actual_access:  read_only
        .address_space:  global
        .offset:         24
        .size:           8
        .value_kind:     global_buffer
      - .actual_access:  read_only
        .address_space:  global
        .offset:         32
        .size:           8
        .value_kind:     global_buffer
      - .offset:         40
        .size:           8
        .value_kind:     by_value
      - .address_space:  global
        .offset:         48
        .size:           8
        .value_kind:     global_buffer
      - .address_space:  global
        .offset:         56
        .size:           8
        .value_kind:     global_buffer
      - .address_space:  global
        .offset:         64
        .size:           8
        .value_kind:     global_buffer
      - .address_space:  global
        .offset:         72
        .size:           8
        .value_kind:     global_buffer
      - .offset:         80
        .size:           4
        .value_kind:     by_value
      - .address_space:  global
        .offset:         88
        .size:           8
        .value_kind:     global_buffer
      - .address_space:  global
        .offset:         96
        .size:           8
        .value_kind:     global_buffer
    .group_segment_fixed_size: 8712
    .kernarg_segment_align: 8
    .kernarg_segment_size: 104
    .language:       OpenCL C
    .language_version:
      - 2
      - 0
    .max_flat_workgroup_size: 121
    .name:           bluestein_single_back_len1089_dim1_sp_op_CI_CI
    .private_segment_fixed_size: 0
    .sgpr_count:     18
    .sgpr_spill_count: 0
    .symbol:         bluestein_single_back_len1089_dim1_sp_op_CI_CI.kd
    .uniform_work_group_size: 1
    .uses_dynamic_stack: false
    .vgpr_count:     198
    .vgpr_spill_count: 0
    .wavefront_size: 32
    .workgroup_processor_mode: 1
amdhsa.target:   amdgcn-amd-amdhsa--gfx1201
amdhsa.version:
  - 1
  - 2
...

	.end_amdgpu_metadata
